;; amdgpu-corpus repo=ROCm/rocFFT kind=compiled arch=gfx906 opt=O3
	.text
	.amdgcn_target "amdgcn-amd-amdhsa--gfx906"
	.amdhsa_code_object_version 6
	.protected	bluestein_single_back_len810_dim1_sp_op_CI_CI ; -- Begin function bluestein_single_back_len810_dim1_sp_op_CI_CI
	.globl	bluestein_single_back_len810_dim1_sp_op_CI_CI
	.p2align	8
	.type	bluestein_single_back_len810_dim1_sp_op_CI_CI,@function
bluestein_single_back_len810_dim1_sp_op_CI_CI: ; @bluestein_single_back_len810_dim1_sp_op_CI_CI
; %bb.0:
	s_load_dwordx4 s[8:11], s[4:5], 0x28
	v_mul_u32_u24_e32 v1, 0x32a, v0
	v_add_u32_sdwa v86, s6, v1 dst_sel:DWORD dst_unused:UNUSED_PAD src0_sel:DWORD src1_sel:WORD_1
	v_mov_b32_e32 v87, 0
	s_waitcnt lgkmcnt(0)
	v_cmp_gt_u64_e32 vcc, s[8:9], v[86:87]
	s_and_saveexec_b64 s[0:1], vcc
	s_cbranch_execz .LBB0_39
; %bb.1:
	s_load_dwordx4 s[12:15], s[4:5], 0x18
	s_load_dwordx2 s[16:17], s[4:5], 0x0
	s_movk_i32 s6, 0x51
	v_mul_lo_u16_sdwa v1, v1, s6 dst_sel:DWORD dst_unused:UNUSED_PAD src0_sel:WORD_1 src1_sel:DWORD
	v_sub_u16_e32 v114, v0, v1
	s_waitcnt lgkmcnt(0)
	s_load_dwordx4 s[0:3], s[12:13], 0x0
	v_lshlrev_b32_e32 v113, 3, v114
	s_waitcnt lgkmcnt(0)
	v_mad_u64_u32 v[0:1], s[6:7], s2, v86, 0
	v_mad_u64_u32 v[2:3], s[6:7], s0, v114, 0
	s_mul_i32 s6, s1, 0x10e
	s_mul_hi_u32 s7, s0, 0x10e
	v_mad_u64_u32 v[4:5], s[2:3], s3, v86, v[1:2]
	s_add_i32 s7, s7, s6
	s_mul_i32 s6, s0, 0x10e
	v_mad_u64_u32 v[5:6], s[2:3], s1, v114, v[3:4]
	v_mov_b32_e32 v1, v4
	v_lshlrev_b64 v[0:1], 3, v[0:1]
	v_mov_b32_e32 v6, s11
	v_mov_b32_e32 v3, v5
	v_add_co_u32_e32 v4, vcc, s10, v0
	v_addc_co_u32_e32 v5, vcc, v6, v1, vcc
	v_lshlrev_b64 v[0:1], 3, v[2:3]
	v_add_co_u32_e64 v80, s[2:3], s16, v113
	v_add_co_u32_e32 v2, vcc, v4, v0
	v_mov_b32_e32 v0, s17
	v_addc_co_u32_e32 v3, vcc, v5, v1, vcc
	v_addc_co_u32_e64 v81, vcc, 0, v0, s[2:3]
	s_lshl_b64 s[12:13], s[6:7], 3
	v_mov_b32_e32 v20, s13
	v_add_co_u32_e32 v4, vcc, s12, v2
	v_addc_co_u32_e32 v5, vcc, v3, v20, vcc
	v_add_co_u32_e32 v6, vcc, s12, v4
	v_addc_co_u32_e32 v7, vcc, v5, v20, vcc
	s_movk_i32 s6, 0x1000
	s_mul_hi_u32 s7, s0, 0xfffffe35
	v_add_co_u32_e32 v0, vcc, s6, v80
	s_mulk_i32 s1, 0xfe35
	s_mul_i32 s6, s0, 0xfffffe35
	s_sub_i32 s0, s7, s0
	s_add_i32 s7, s0, s1
	v_addc_co_u32_e32 v1, vcc, 0, v81, vcc
	s_lshl_b64 s[18:19], s[6:7], 3
	global_load_dwordx2 v[8:9], v[2:3], off
	global_load_dwordx2 v[10:11], v[4:5], off
	;; [unrolled: 1-line block ×3, first 2 shown]
	global_load_dwordx2 v[99:100], v113, s[16:17]
	global_load_dwordx2 v[93:94], v113, s[16:17] offset:648
	global_load_dwordx2 v[95:96], v113, s[16:17] offset:2160
	;; [unrolled: 1-line block ×5, first 2 shown]
	global_load_dwordx2 v[97:98], v[0:1], off offset:224
	global_load_dwordx2 v[89:90], v[0:1], off offset:872
	v_mov_b32_e32 v16, s19
	v_add_co_u32_e32 v2, vcc, s18, v6
	v_addc_co_u32_e32 v3, vcc, v7, v16, vcc
	global_load_dwordx2 v[4:5], v[2:3], off
	v_add_co_u32_e32 v2, vcc, s12, v2
	v_addc_co_u32_e32 v3, vcc, v3, v20, vcc
	global_load_dwordx2 v[6:7], v[2:3], off
	;; [unrolled: 3-line block ×5, first 2 shown]
	v_add_co_u32_e32 v2, vcc, s12, v2
	v_addc_co_u32_e32 v3, vcc, v3, v20, vcc
	global_load_dwordx2 v[87:88], v[0:1], off offset:1520
	global_load_dwordx2 v[20:21], v[2:3], off
	v_cmp_gt_u16_e64 s[0:1], 27, v114
	s_waitcnt vmcnt(14)
	v_mul_f32_e32 v22, v9, v100
	v_mul_f32_e32 v23, v8, v100
	v_fmac_f32_e32 v22, v8, v99
	v_fma_f32 v23, v9, v99, -v23
	s_waitcnt vmcnt(12)
	v_mul_f32_e32 v8, v11, v96
	v_mul_f32_e32 v9, v10, v96
	v_fmac_f32_e32 v8, v10, v95
	v_fma_f32 v9, v11, v95, -v9
	ds_write_b64 v113, v[8:9] offset:2160
	s_waitcnt vmcnt(8)
	v_mul_f32_e32 v8, v12, v98
	v_fma_f32 v9, v13, v97, -v8
	v_mul_f32_e32 v8, v13, v98
	v_fmac_f32_e32 v8, v12, v97
	s_load_dwordx2 s[6:7], s[4:5], 0x38
	s_load_dwordx4 s[8:11], s[14:15], 0x0
	ds_write_b64 v113, v[8:9] offset:4320
	s_waitcnt vmcnt(6)
	v_mul_f32_e32 v8, v4, v94
	v_fma_f32 v9, v5, v93, -v8
	v_mul_f32_e32 v8, v5, v94
	v_fmac_f32_e32 v8, v4, v93
	ds_write2_b64 v113, v[22:23], v[8:9] offset1:81
	s_waitcnt vmcnt(5)
	v_mul_f32_e32 v4, v7, v92
	v_mul_f32_e32 v5, v6, v92
	v_fmac_f32_e32 v4, v6, v91
	v_fma_f32 v5, v7, v91, -v5
	s_waitcnt vmcnt(4)
	v_mul_f32_e32 v6, v15, v90
	v_mul_f32_e32 v7, v14, v90
	v_fmac_f32_e32 v6, v14, v89
	v_fma_f32 v7, v15, v89, -v7
	;; [unrolled: 5-line block ×3, first 2 shown]
	ds_write_b64 v113, v[8:9] offset:1296
	s_waitcnt vmcnt(2)
	v_mul_f32_e32 v9, v19, v83
	v_mul_f32_e32 v8, v18, v83
	v_fmac_f32_e32 v9, v18, v82
	v_fma_f32 v10, v19, v82, -v8
	v_add_u32_e32 v8, 0x800, v113
	ds_write2_b64 v8, v[4:5], v[9:10] offset0:95 offset1:176
	s_waitcnt vmcnt(0)
	v_mul_f32_e32 v4, v21, v88
	v_mul_f32_e32 v5, v20, v88
	v_fmac_f32_e32 v4, v20, v87
	v_fma_f32 v5, v21, v87, -v5
	v_add_u32_e32 v9, 0x1000, v113
	ds_write2_b64 v9, v[6:7], v[4:5] offset0:109 offset1:190
	s_and_saveexec_b64 s[14:15], s[0:1]
	s_cbranch_execz .LBB0_3
; %bb.2:
	v_mov_b32_e32 v4, s19
	v_add_co_u32_e32 v2, vcc, s18, v2
	v_addc_co_u32_e32 v3, vcc, v3, v4, vcc
	global_load_dwordx2 v[4:5], v[2:3], off
	global_load_dwordx2 v[6:7], v[80:81], off offset:1944
	v_mov_b32_e32 v14, s13
	v_add_co_u32_e32 v2, vcc, s12, v2
	v_addc_co_u32_e32 v3, vcc, v3, v14, vcc
	global_load_dwordx2 v[10:11], v[2:3], off
	global_load_dwordx2 v[12:13], v[0:1], off offset:8
	v_add_co_u32_e32 v2, vcc, s12, v2
	v_addc_co_u32_e32 v3, vcc, v3, v14, vcc
	global_load_dwordx2 v[14:15], v[0:1], off offset:2168
	global_load_dwordx2 v[16:17], v[2:3], off
	s_waitcnt vmcnt(4)
	v_mul_f32_e32 v0, v5, v7
	v_mul_f32_e32 v1, v4, v7
	v_fmac_f32_e32 v0, v4, v6
	v_fma_f32 v1, v5, v6, -v1
	ds_write_b64 v113, v[0:1] offset:1944
	s_waitcnt vmcnt(2)
	v_mul_f32_e32 v2, v11, v13
	v_mul_f32_e32 v3, v10, v13
	v_fmac_f32_e32 v2, v10, v12
	v_fma_f32 v3, v11, v12, -v3
	ds_write_b64 v113, v[2:3] offset:4104
	;; [unrolled: 6-line block ×3, first 2 shown]
.LBB0_3:
	s_or_b64 exec, exec, s[14:15]
	v_add_u32_e32 v0, 0x400, v113
	s_waitcnt lgkmcnt(0)
	s_barrier
	ds_read2_b64 v[4:7], v113 offset1:81
	ds_read2_b64 v[0:3], v0 offset0:34 offset1:142
	ds_read2_b64 v[12:15], v9 offset0:28 offset1:109
	;; [unrolled: 1-line block ×3, first 2 shown]
	ds_read_b64 v[22:23], v113 offset:5616
	s_load_dwordx2 s[4:5], s[4:5], 0x8
                                        ; implicit-def: $vgpr16
                                        ; implicit-def: $vgpr18
                                        ; implicit-def: $vgpr20
	s_and_saveexec_b64 s[12:13], s[0:1]
	s_cbranch_execz .LBB0_5
; %bb.4:
	ds_read_b64 v[16:17], v113 offset:1944
	ds_read_b64 v[18:19], v113 offset:4104
	ds_read_b64 v[20:21], v113 offset:6264
.LBB0_5:
	s_or_b64 exec, exec, s[12:13]
	s_waitcnt lgkmcnt(0)
	v_add_f32_e32 v25, v2, v12
	v_add_f32_e32 v24, v4, v2
	v_fma_f32 v4, -0.5, v25, v4
	v_sub_f32_e32 v25, v3, v13
	v_mov_b32_e32 v26, v4
	v_fmac_f32_e32 v26, 0x3f5db3d7, v25
	v_fmac_f32_e32 v4, 0xbf5db3d7, v25
	v_add_f32_e32 v25, v5, v3
	v_add_f32_e32 v3, v3, v13
	v_fma_f32 v5, -0.5, v3, v5
	v_sub_f32_e32 v2, v2, v12
	v_mov_b32_e32 v27, v5
	v_add_f32_e32 v3, v8, v14
	v_fmac_f32_e32 v27, 0xbf5db3d7, v2
	v_fmac_f32_e32 v5, 0x3f5db3d7, v2
	v_add_f32_e32 v2, v6, v8
	v_fma_f32 v6, -0.5, v3, v6
	v_add_f32_e32 v24, v24, v12
	v_sub_f32_e32 v3, v9, v15
	v_mov_b32_e32 v12, v6
	v_fmac_f32_e32 v12, 0x3f5db3d7, v3
	v_fmac_f32_e32 v6, 0xbf5db3d7, v3
	v_add_f32_e32 v3, v7, v9
	v_add_f32_e32 v9, v9, v15
	v_fmac_f32_e32 v7, -0.5, v9
	v_add_f32_e32 v25, v25, v13
	v_sub_f32_e32 v8, v8, v14
	v_mov_b32_e32 v13, v7
	v_add_f32_e32 v9, v10, v22
	v_fmac_f32_e32 v13, 0xbf5db3d7, v8
	v_fmac_f32_e32 v7, 0x3f5db3d7, v8
	v_add_f32_e32 v8, v0, v10
	v_fma_f32 v0, -0.5, v9, v0
	v_add_f32_e32 v2, v2, v14
	v_sub_f32_e32 v9, v11, v23
	v_mov_b32_e32 v14, v0
	v_fmac_f32_e32 v14, 0x3f5db3d7, v9
	v_fmac_f32_e32 v0, 0xbf5db3d7, v9
	v_add_f32_e32 v9, v1, v11
	v_add_f32_e32 v11, v11, v23
	v_fmac_f32_e32 v1, -0.5, v11
	v_add_f32_e32 v3, v3, v15
	v_sub_f32_e32 v10, v10, v22
	v_mov_b32_e32 v15, v1
	v_fmac_f32_e32 v15, 0xbf5db3d7, v10
	v_fmac_f32_e32 v1, 0x3f5db3d7, v10
	v_add_f32_e32 v10, v18, v20
	v_fma_f32 v48, -0.5, v10, v16
	v_sub_f32_e32 v10, v19, v21
	v_mov_b32_e32 v50, v48
	v_fmac_f32_e32 v50, 0x3f5db3d7, v10
	v_fmac_f32_e32 v48, 0xbf5db3d7, v10
	v_add_f32_e32 v10, v19, v21
	v_fma_f32 v49, -0.5, v10, v17
	v_sub_f32_e32 v10, v18, v20
	v_mov_b32_e32 v51, v49
	v_fmac_f32_e32 v51, 0xbf5db3d7, v10
	v_fmac_f32_e32 v49, 0x3f5db3d7, v10
	v_mul_lo_u16_e32 v10, 3, v114
	v_add_co_u32_e32 v130, vcc, 0x51, v114
	v_lshlrev_b32_e32 v115, 3, v10
	s_barrier
	ds_write2_b64 v115, v[24:25], v[26:27] offset1:1
	ds_write_b64 v115, v[4:5] offset:16
	v_mul_u32_u24_e32 v4, 3, v130
	v_addc_co_u32_e64 v70, s[12:13], 0, 0, vcc
	v_add_co_u32_e32 v129, vcc, 0xa2, v114
	v_lshlrev_b32_e32 v116, 3, v4
	v_add_co_u32_e32 v127, vcc, 0xf3, v114
	ds_write2_b64 v116, v[2:3], v[12:13] offset1:1
	ds_write_b64 v116, v[6:7] offset:16
	v_mul_u32_u24_e32 v2, 3, v129
	v_addc_co_u32_e64 v128, s[12:13], 0, 0, vcc
	v_add_f32_e32 v8, v8, v22
	v_add_f32_e32 v9, v9, v23
	v_lshlrev_b32_e32 v118, 3, v2
	v_mul_u32_u24_e32 v117, 3, v127
	ds_write2_b64 v118, v[8:9], v[14:15] offset1:1
	ds_write_b64 v118, v[0:1] offset:16
	s_and_saveexec_b64 s[12:13], s[0:1]
	s_cbranch_execz .LBB0_7
; %bb.6:
	v_add_f32_e32 v0, v17, v19
	v_add_f32_e32 v1, v0, v21
	;; [unrolled: 1-line block ×4, first 2 shown]
	v_lshlrev_b32_e32 v2, 3, v117
	ds_write2_b64 v2, v[0:1], v[50:51] offset1:1
	ds_write_b64 v2, v[48:49] offset:16
.LBB0_7:
	s_or_b64 exec, exec, s[12:13]
	s_movk_i32 s12, 0xab
	v_mul_lo_u16_sdwa v0, v114, s12 dst_sel:DWORD dst_unused:UNUSED_PAD src0_sel:BYTE_0 src1_sel:DWORD
	v_lshrrev_b16_e32 v36, 9, v0
	v_mul_lo_u16_e32 v0, 3, v36
	v_sub_u16_e32 v0, v114, v0
	v_and_b32_e32 v37, 0xff, v0
	v_mov_b32_e32 v0, s4
	s_movk_i32 s12, 0x48
	v_mov_b32_e32 v1, s5
	v_mad_u64_u32 v[16:17], s[12:13], v37, s12, v[0:1]
	s_waitcnt lgkmcnt(0)
	s_barrier
	global_load_dwordx4 v[12:15], v[16:17], off
	global_load_dwordx4 v[8:11], v[16:17], off offset:16
	global_load_dwordx4 v[4:7], v[16:17], off offset:32
	;; [unrolled: 1-line block ×3, first 2 shown]
	global_load_dwordx2 v[101:102], v[16:17], off offset:64
	v_add_u32_e32 v44, 0x800, v113
	v_add_u32_e32 v28, 0xc00, v113
	ds_read2_b64 v[16:19], v113 offset1:81
	ds_read2_b64 v[20:23], v113 offset0:162 offset1:243
	v_add_u32_e32 v40, 0x1000, v113
	ds_read2_b64 v[24:27], v44 offset0:68 offset1:149
	ds_read2_b64 v[28:31], v28 offset0:102 offset1:183
	;; [unrolled: 1-line block ×3, first 2 shown]
	s_mov_b32 s14, 0x3f737871
	s_mov_b32 s12, 0xbf737871
	;; [unrolled: 1-line block ×4, first 2 shown]
	s_waitcnt vmcnt(0) lgkmcnt(0)
	s_barrier
	v_mul_f32_e32 v38, v19, v13
	v_mul_f32_e32 v41, v21, v15
	;; [unrolled: 1-line block ×12, first 2 shown]
	v_fma_f32 v20, v20, v14, -v41
	v_fmac_f32_e32 v42, v21, v14
	v_fma_f32 v21, v22, v8, -v43
	v_fmac_f32_e32 v45, v23, v8
	v_fma_f32 v23, v18, v12, -v38
	v_fma_f32 v18, v24, v10, -v46
	v_fmac_f32_e32 v47, v25, v10
	v_fma_f32 v22, v28, v6, -v54
	v_fma_f32 v25, v32, v2, -v58
	v_mul_f32_e32 v52, v27, v5
	v_mul_f32_e32 v55, v28, v7
	;; [unrolled: 1-line block ×5, first 2 shown]
	v_fmac_f32_e32 v57, v31, v0
	v_fmac_f32_e32 v59, v33, v2
	v_add_f32_e32 v28, v18, v22
	v_sub_f32_e32 v31, v20, v18
	v_sub_f32_e32 v32, v25, v22
	v_add_f32_e32 v33, v20, v25
	v_mul_f32_e32 v53, v26, v5
	v_fmac_f32_e32 v39, v19, v12
	v_fma_f32 v19, v26, v4, -v52
	v_fmac_f32_e32 v55, v29, v6
	v_fma_f32 v26, v34, v101, -v60
	v_fmac_f32_e32 v61, v35, v101
	v_sub_f32_e32 v34, v18, v20
	v_sub_f32_e32 v35, v22, v25
	v_fma_f32 v41, -0.5, v28, v16
	v_add_f32_e32 v28, v31, v32
	v_fma_f32 v31, -0.5, v33, v16
	v_fmac_f32_e32 v53, v27, v4
	v_fma_f32 v24, v30, v0, -v56
	v_add_f32_e32 v27, v16, v20
	v_sub_f32_e32 v30, v47, v55
	v_add_f32_e32 v16, v34, v35
	v_mov_b32_e32 v34, v31
	v_sub_f32_e32 v29, v42, v59
	v_add_f32_e32 v38, v17, v42
	v_fmac_f32_e32 v31, 0x3f737871, v30
	v_fmac_f32_e32 v34, 0xbf737871, v30
	v_add_f32_e32 v32, v38, v47
	v_fmac_f32_e32 v31, 0xbf167918, v29
	v_fmac_f32_e32 v34, 0x3f167918, v29
	v_mov_b32_e32 v33, v41
	v_fmac_f32_e32 v31, 0x3e9e377a, v16
	v_fmac_f32_e32 v34, 0x3e9e377a, v16
	v_add_f32_e32 v16, v32, v55
	v_fmac_f32_e32 v41, 0xbf737871, v29
	v_fmac_f32_e32 v33, 0x3f737871, v29
	v_add_f32_e32 v29, v16, v59
	v_add_f32_e32 v16, v47, v55
	v_fma_f32 v35, -0.5, v16, v17
	v_add_f32_e32 v27, v27, v18
	v_sub_f32_e32 v16, v20, v25
	v_mov_b32_e32 v38, v35
	v_add_f32_e32 v27, v27, v22
	v_fmac_f32_e32 v38, 0xbf737871, v16
	v_sub_f32_e32 v18, v18, v22
	v_sub_f32_e32 v20, v42, v47
	;; [unrolled: 1-line block ×3, first 2 shown]
	v_fmac_f32_e32 v35, 0x3f737871, v16
	v_fmac_f32_e32 v38, 0xbf167918, v18
	v_add_f32_e32 v20, v20, v22
	v_fmac_f32_e32 v35, 0x3f167918, v18
	v_fmac_f32_e32 v38, 0x3e9e377a, v20
	;; [unrolled: 1-line block ×3, first 2 shown]
	v_add_f32_e32 v20, v42, v59
	v_fma_f32 v43, -0.5, v20, v17
	v_mov_b32_e32 v46, v43
	v_fmac_f32_e32 v46, 0x3f737871, v18
	v_fmac_f32_e32 v43, 0xbf737871, v18
	;; [unrolled: 1-line block ×4, first 2 shown]
	v_add_f32_e32 v16, v23, v21
	v_add_f32_e32 v16, v16, v19
	v_fmac_f32_e32 v41, 0xbf167918, v30
	v_fmac_f32_e32 v33, 0x3f167918, v30
	v_add_f32_e32 v16, v16, v24
	v_fmac_f32_e32 v41, 0x3e9e377a, v28
	v_fmac_f32_e32 v33, 0x3e9e377a, v28
	v_add_f32_e32 v28, v16, v26
	v_add_f32_e32 v16, v19, v24
	v_add_f32_e32 v27, v27, v25
	v_sub_f32_e32 v17, v47, v42
	v_sub_f32_e32 v20, v55, v59
	v_fma_f32 v25, -0.5, v16, v23
	v_add_f32_e32 v17, v17, v20
	v_sub_f32_e32 v16, v45, v61
	v_mov_b32_e32 v30, v25
	v_fmac_f32_e32 v46, 0x3e9e377a, v17
	v_fmac_f32_e32 v43, 0x3e9e377a, v17
	;; [unrolled: 1-line block ×3, first 2 shown]
	v_sub_f32_e32 v17, v53, v57
	v_sub_f32_e32 v18, v21, v19
	;; [unrolled: 1-line block ×3, first 2 shown]
	v_fmac_f32_e32 v25, 0xbf737871, v16
	v_fmac_f32_e32 v30, 0x3f167918, v17
	v_add_f32_e32 v18, v18, v20
	v_fmac_f32_e32 v25, 0xbf167918, v17
	v_fmac_f32_e32 v30, 0x3e9e377a, v18
	;; [unrolled: 1-line block ×3, first 2 shown]
	v_add_f32_e32 v18, v21, v26
	v_fmac_f32_e32 v23, -0.5, v18
	v_mov_b32_e32 v32, v23
	v_fmac_f32_e32 v32, 0xbf737871, v17
	v_fmac_f32_e32 v23, 0x3f737871, v17
	;; [unrolled: 1-line block ×4, first 2 shown]
	v_add_f32_e32 v16, v39, v45
	v_add_f32_e32 v16, v16, v53
	;; [unrolled: 1-line block ×5, first 2 shown]
	v_sub_f32_e32 v18, v19, v21
	v_sub_f32_e32 v20, v24, v26
	v_fma_f32 v47, -0.5, v16, v39
	v_add_f32_e32 v18, v18, v20
	v_sub_f32_e32 v16, v21, v26
	v_mov_b32_e32 v21, v47
	v_fmac_f32_e32 v32, 0x3e9e377a, v18
	v_fmac_f32_e32 v23, 0x3e9e377a, v18
	;; [unrolled: 1-line block ×3, first 2 shown]
	v_sub_f32_e32 v17, v19, v24
	v_sub_f32_e32 v18, v45, v53
	;; [unrolled: 1-line block ×3, first 2 shown]
	v_fmac_f32_e32 v47, 0x3f737871, v16
	v_fmac_f32_e32 v21, 0xbf167918, v17
	v_add_f32_e32 v18, v18, v19
	v_fmac_f32_e32 v47, 0x3f167918, v17
	v_fmac_f32_e32 v21, 0x3e9e377a, v18
	;; [unrolled: 1-line block ×3, first 2 shown]
	v_add_f32_e32 v18, v45, v61
	v_fmac_f32_e32 v39, -0.5, v18
	v_mov_b32_e32 v26, v39
	v_fmac_f32_e32 v26, 0x3f737871, v17
	v_sub_f32_e32 v18, v53, v45
	v_sub_f32_e32 v19, v57, v61
	v_fmac_f32_e32 v26, 0xbf167918, v16
	v_add_f32_e32 v18, v18, v19
	v_fmac_f32_e32 v39, 0xbf737871, v17
	v_fmac_f32_e32 v26, 0x3e9e377a, v18
	;; [unrolled: 1-line block ×4, first 2 shown]
	v_mul_f32_e32 v52, 0x3f737871, v26
	v_mul_f32_e32 v56, 0xbf737871, v32
	;; [unrolled: 1-line block ×3, first 2 shown]
	v_fmac_f32_e32 v52, 0x3e9e377a, v32
	v_mul_f32_e32 v17, 0x3e9e377a, v23
	v_mul_f32_e32 v55, 0xbf167918, v30
	v_fmac_f32_e32 v56, 0x3e9e377a, v26
	v_mul_f32_e32 v26, 0x3e9e377a, v39
	v_fmac_f32_e32 v45, 0x3f4f1bbd, v30
	v_add_f32_e32 v20, v34, v52
	v_fma_f32 v53, v39, s14, -v17
	v_mul_f32_e32 v17, 0x3f4f1bbd, v25
	v_fmac_f32_e32 v55, 0x3f4f1bbd, v21
	v_fma_f32 v39, v23, s12, -v26
	v_mul_f32_e32 v26, 0x3f4f1bbd, v47
	v_sub_f32_e32 v30, v34, v52
	v_mul_u32_u24_e32 v34, 30, v36
	v_add_f32_e32 v16, v27, v28
	v_add_f32_e32 v18, v33, v45
	v_fma_f32 v54, v47, s15, -v17
	v_add_f32_e32 v17, v29, v42
	v_add_f32_e32 v19, v38, v55
	v_fma_f32 v47, v25, s13, -v26
	v_add_lshl_u32 v119, v34, v37, 3
	v_add_f32_e32 v22, v31, v53
	v_add_f32_e32 v24, v41, v54
	;; [unrolled: 1-line block ×5, first 2 shown]
	v_sub_f32_e32 v26, v27, v28
	v_sub_f32_e32 v28, v33, v45
	;; [unrolled: 1-line block ×9, first 2 shown]
	ds_write2_b64 v119, v[16:17], v[18:19] offset1:3
	ds_write2_b64 v119, v[20:21], v[22:23] offset0:6 offset1:9
	ds_write2_b64 v119, v[24:25], v[26:27] offset0:12 offset1:15
	ds_write2_b64 v119, v[28:29], v[30:31] offset0:18 offset1:21
	ds_write2_b64 v119, v[32:33], v[64:65] offset0:24 offset1:27
	v_add_u32_e32 v16, 0x400, v113
	s_waitcnt lgkmcnt(0)
	s_barrier
	ds_read2_b64 v[36:39], v113 offset1:81
	ds_read2_b64 v[32:35], v16 offset0:34 offset1:142
	ds_read2_b64 v[40:43], v40 offset0:28 offset1:109
	;; [unrolled: 1-line block ×3, first 2 shown]
	ds_read_b64 v[52:53], v113 offset:5616
	s_and_saveexec_b64 s[12:13], s[0:1]
	s_cbranch_execz .LBB0_9
; %bb.8:
	ds_read_b64 v[64:65], v113 offset:1944
	ds_read_b64 v[50:51], v113 offset:4104
	;; [unrolled: 1-line block ×3, first 2 shown]
.LBB0_9:
	s_or_b64 exec, exec, s[12:13]
	s_movk_i32 s12, 0x89
	v_mul_lo_u16_sdwa v16, v114, s12 dst_sel:DWORD dst_unused:UNUSED_PAD src0_sel:BYTE_0 src1_sel:DWORD
	v_lshrrev_b16_e32 v54, 12, v16
	v_mul_lo_u16_e32 v16, 30, v54
	v_sub_u16_e32 v16, v114, v16
	v_and_b32_e32 v55, 0xff, v16
	v_mul_lo_u16_sdwa v16, v130, s12 dst_sel:DWORD dst_unused:UNUSED_PAD src0_sel:BYTE_0 src1_sel:DWORD
	v_lshrrev_b16_e32 v56, 12, v16
	v_mul_lo_u16_e32 v16, 30, v56
	v_sub_u16_e32 v16, v130, v16
	v_lshlrev_b32_e32 v24, 4, v55
	v_and_b32_e32 v57, 0xff, v16
	v_lshlrev_b32_e32 v25, 4, v57
	global_load_dwordx4 v[20:23], v24, s[4:5] offset:216
	global_load_dwordx4 v[16:19], v25, s[4:5] offset:216
	v_mul_lo_u16_sdwa v24, v129, s12 dst_sel:DWORD dst_unused:UNUSED_PAD src0_sel:BYTE_0 src1_sel:DWORD
	s_mov_b32 s12, 0x8889
	v_mul_u32_u24_sdwa v28, v127, s12 dst_sel:DWORD dst_unused:UNUSED_PAD src0_sel:WORD_0 src1_sel:DWORD
	v_lshrrev_b16_e32 v58, 12, v24
	v_lshrrev_b32_e32 v28, 20, v28
	v_mul_lo_u16_e32 v24, 30, v58
	v_mul_lo_u16_e32 v28, 30, v28
	v_sub_u16_e32 v24, v129, v24
	v_sub_u16_e32 v60, v127, v28
	v_and_b32_e32 v59, 0xff, v24
	v_lshlrev_b16_e32 v28, 4, v60
	v_lshlrev_b32_e32 v24, 4, v59
	v_mov_b32_e32 v29, s5
	v_add_co_u32_e32 v28, vcc, s4, v28
	global_load_dwordx4 v[24:27], v24, s[4:5] offset:216
	v_addc_co_u32_e32 v29, vcc, 0, v29, vcc
	global_load_dwordx4 v[28:31], v[28:29], off offset:216
	s_waitcnt vmcnt(0) lgkmcnt(0)
	s_barrier
	v_lshlrev_b32_e32 v120, 3, v60
	v_mul_f32_e32 v61, v35, v21
	v_mul_f32_e32 v62, v34, v21
	;; [unrolled: 1-line block ×6, first 2 shown]
	v_fma_f32 v34, v34, v20, -v61
	v_fmac_f32_e32 v62, v35, v20
	v_fma_f32 v35, v40, v22, -v63
	v_fmac_f32_e32 v66, v41, v22
	v_mul_f32_e32 v67, v45, v17
	v_mul_f32_e32 v69, v43, v19
	v_fmac_f32_e32 v68, v45, v16
	v_fmac_f32_e32 v71, v43, v18
	v_add_f32_e32 v41, v34, v35
	v_add_f32_e32 v43, v62, v66
	v_fma_f32 v61, v44, v16, -v67
	v_mul_f32_e32 v72, v47, v25
	v_mul_f32_e32 v73, v46, v25
	;; [unrolled: 1-line block ×6, first 2 shown]
	v_fma_f32 v45, v42, v18, -v69
	v_fma_f32 v63, v46, v24, -v72
	v_add_f32_e32 v40, v36, v34
	v_sub_f32_e32 v46, v62, v66
	v_add_f32_e32 v42, v37, v62
	v_add_f32_e32 v62, v68, v71
	v_fma_f32 v36, -0.5, v41, v36
	v_fma_f32 v37, -0.5, v43, v37
	v_mul_f32_e32 v76, v51, v29
	v_mul_f32_e32 v79, v48, v31
	v_fmac_f32_e32 v73, v47, v24
	v_fma_f32 v52, v52, v26, -v74
	v_fmac_f32_e32 v75, v53, v26
	v_fmac_f32_e32 v77, v51, v28
	v_fma_f32 v51, v48, v30, -v78
	v_sub_f32_e32 v47, v34, v35
	v_add_f32_e32 v44, v38, v61
	v_add_f32_e32 v48, v61, v45
	;; [unrolled: 1-line block ×5, first 2 shown]
	v_mov_b32_e32 v42, v36
	v_mov_b32_e32 v43, v37
	v_fmac_f32_e32 v39, -0.5, v62
	v_add_f32_e32 v40, v44, v45
	v_fma_f32 v38, -0.5, v48, v38
	v_fmac_f32_e32 v36, 0xbf5db3d7, v46
	v_fmac_f32_e32 v37, 0x3f5db3d7, v47
	;; [unrolled: 1-line block ×4, first 2 shown]
	v_sub_f32_e32 v46, v61, v45
	v_mov_b32_e32 v45, v39
	v_add_f32_e32 v47, v63, v52
	v_fmac_f32_e32 v79, v49, v30
	v_sub_f32_e32 v49, v68, v71
	v_mov_b32_e32 v44, v38
	v_fmac_f32_e32 v45, 0xbf5db3d7, v46
	v_fmac_f32_e32 v39, 0x3f5db3d7, v46
	v_add_f32_e32 v46, v32, v63
	v_fma_f32 v32, -0.5, v47, v32
	v_fmac_f32_e32 v38, 0xbf5db3d7, v49
	v_fmac_f32_e32 v44, 0x3f5db3d7, v49
	v_sub_f32_e32 v47, v73, v75
	v_mov_b32_e32 v48, v32
	v_add_f32_e32 v49, v73, v75
	v_fmac_f32_e32 v48, 0x3f5db3d7, v47
	v_fmac_f32_e32 v32, 0xbf5db3d7, v47
	v_add_f32_e32 v47, v33, v73
	v_fmac_f32_e32 v33, -0.5, v49
	v_fma_f32 v50, v50, v28, -v76
	v_add_f32_e32 v46, v46, v52
	v_sub_f32_e32 v52, v63, v52
	v_mov_b32_e32 v49, v33
	v_fmac_f32_e32 v49, 0xbf5db3d7, v52
	v_fmac_f32_e32 v33, 0x3f5db3d7, v52
	v_add_f32_e32 v52, v64, v50
	v_add_f32_e32 v105, v52, v51
	;; [unrolled: 1-line block ×3, first 2 shown]
	v_fmac_f32_e32 v64, -0.5, v52
	v_sub_f32_e32 v52, v77, v79
	v_mov_b32_e32 v66, v64
	v_fmac_f32_e32 v66, 0x3f5db3d7, v52
	v_fmac_f32_e32 v64, 0xbf5db3d7, v52
	v_add_f32_e32 v52, v65, v77
	v_add_f32_e32 v106, v52, v79
	;; [unrolled: 1-line block ×3, first 2 shown]
	v_fmac_f32_e32 v65, -0.5, v52
	v_sub_f32_e32 v50, v50, v51
	v_mov_b32_e32 v67, v65
	v_fmac_f32_e32 v67, 0xbf5db3d7, v50
	v_fmac_f32_e32 v65, 0x3f5db3d7, v50
	v_mul_u32_u24_e32 v50, 0x5a, v54
	v_add_lshl_u32 v121, v50, v55, 3
	ds_write2_b64 v121, v[34:35], v[42:43] offset1:30
	ds_write_b64 v121, v[36:37] offset:480
	v_mul_u32_u24_e32 v34, 0x5a, v56
	v_add_lshl_u32 v122, v34, v57, 3
	v_mul_u32_u24_e32 v34, 0x5a, v58
	v_add_f32_e32 v41, v53, v71
	v_add_f32_e32 v47, v47, v75
	v_add_lshl_u32 v123, v34, v59, 3
	ds_write2_b64 v122, v[40:41], v[44:45] offset1:30
	ds_write_b64 v122, v[38:39] offset:480
	ds_write2_b64 v123, v[46:47], v[48:49] offset1:30
	ds_write_b64 v123, v[32:33] offset:480
	s_and_saveexec_b64 s[12:13], s[0:1]
	s_cbranch_execz .LBB0_11
; %bb.10:
	v_add_u32_e32 v32, 0x1000, v120
	ds_write2_b64 v32, v[105:106], v[66:67] offset0:208 offset1:238
	ds_write_b64 v120, v[64:65] offset:6240
.LBB0_11:
	s_or_b64 exec, exec, s[12:13]
	v_add_u32_e32 v32, 0x400, v113
	s_waitcnt lgkmcnt(0)
	s_barrier
	ds_read2_b64 v[40:43], v32 offset0:34 offset1:142
	v_add_u32_e32 v32, 0x1000, v113
	ds_read2_b64 v[60:63], v32 offset0:28 offset1:109
	v_add_u32_e32 v32, 0x800, v113
	ds_read2_b64 v[52:55], v113 offset1:81
	ds_read2_b64 v[56:59], v32 offset0:95 offset1:176
	ds_read_b64 v[68:69], v113 offset:5616
	s_and_saveexec_b64 s[12:13], s[0:1]
	s_cbranch_execz .LBB0_13
; %bb.12:
	ds_read_b64 v[105:106], v113 offset:1944
	ds_read_b64 v[66:67], v113 offset:4104
	;; [unrolled: 1-line block ×3, first 2 shown]
.LBB0_13:
	s_or_b64 exec, exec, s[12:13]
	v_add_co_u32_e32 v36, vcc, -9, v114
	v_addc_co_u32_e64 v37, s[12:13], 0, -1, vcc
	s_movk_i32 s12, 0xb7
	v_cmp_gt_u16_e32 vcc, 9, v114
	v_cndmask_b32_e32 v71, v37, v70, vcc
	v_cndmask_b32_e32 v70, v36, v130, vcc
	s_movk_i32 s13, 0x2d83
	v_mul_lo_u16_sdwa v44, v129, s12 dst_sel:DWORD dst_unused:UNUSED_PAD src0_sel:BYTE_0 src1_sel:DWORD
	v_lshlrev_b32_e32 v72, 4, v114
	v_lshlrev_b64 v[36:37], 4, v[70:71]
	v_mul_u32_u24_sdwa v45, v127, s13 dst_sel:DWORD dst_unused:UNUSED_PAD src0_sel:WORD_0 src1_sel:DWORD
	v_lshrrev_b16_e32 v71, 14, v44
	global_load_dwordx4 v[32:35], v72, s[4:5] offset:696
	v_lshrrev_b32_e32 v44, 20, v45
	v_mul_lo_u16_e32 v45, 0x5a, v71
	v_mov_b32_e32 v73, s5
	v_add_co_u32_e32 v36, vcc, s4, v36
	v_sub_u16_e32 v45, v129, v45
	v_addc_co_u32_e32 v37, vcc, v73, v37, vcc
	v_and_b32_e32 v75, 0xff, v45
	global_load_dwordx4 v[36:39], v[36:37], off offset:696
	v_mul_lo_u16_e32 v44, 0x5a, v44
	v_lshlrev_b32_e32 v45, 4, v75
	v_sub_u16_e32 v74, v127, v44
	global_load_dwordx4 v[48:51], v45, s[4:5] offset:696
	v_lshlrev_b16_e32 v44, 4, v74
	v_add_co_u32_e32 v44, vcc, s4, v44
	v_addc_co_u32_e32 v45, vcc, 0, v73, vcc
	global_load_dwordx4 v[44:47], v[44:45], off offset:696
	v_add_co_u32_e32 v109, vcc, s4, v72
	v_addc_co_u32_e32 v110, vcc, 0, v73, vcc
	s_waitcnt vmcnt(0) lgkmcnt(0)
	s_barrier
	v_cmp_lt_u16_e32 vcc, 8, v114
	v_lshlrev_b32_e32 v124, 3, v74
	v_mul_f32_e32 v72, v43, v33
	v_mul_f32_e32 v73, v42, v33
	;; [unrolled: 1-line block ×4, first 2 shown]
	v_fma_f32 v42, v42, v32, -v72
	v_fmac_f32_e32 v73, v43, v32
	v_fmac_f32_e32 v77, v61, v34
	v_fma_f32 v43, v60, v34, -v76
	v_add_f32_e32 v60, v52, v42
	v_sub_f32_e32 v72, v73, v77
	v_add_f32_e32 v76, v53, v73
	v_add_f32_e32 v73, v73, v77
	;; [unrolled: 1-line block ×3, first 2 shown]
	v_sub_f32_e32 v78, v42, v43
	v_add_f32_e32 v42, v60, v43
	v_add_f32_e32 v43, v76, v77
	v_fma_f32 v53, -0.5, v73, v53
	v_mul_f32_e32 v73, v57, v37
	v_mul_f32_e32 v76, v56, v37
	;; [unrolled: 1-line block ×3, first 2 shown]
	v_fma_f32 v52, -0.5, v61, v52
	v_mul_f32_e32 v79, v62, v39
	v_fma_f32 v73, v56, v36, -v73
	v_fmac_f32_e32 v76, v57, v36
	v_fma_f32 v62, v62, v38, -v77
	v_mul_f32_e32 v57, v69, v51
	v_mov_b32_e32 v60, v52
	v_mul_f32_e32 v77, v68, v51
	v_fma_f32 v68, v68, v50, -v57
	v_add_f32_e32 v57, v73, v62
	v_fmac_f32_e32 v52, 0xbf5db3d7, v72
	v_fmac_f32_e32 v79, v63, v38
	;; [unrolled: 1-line block ×3, first 2 shown]
	v_mul_f32_e32 v56, v59, v49
	v_mul_f32_e32 v72, v58, v49
	v_add_f32_e32 v104, v54, v73
	v_fma_f32 v54, -0.5, v57, v54
	v_fma_f32 v107, v58, v48, -v56
	v_fmac_f32_e32 v72, v59, v48
	v_sub_f32_e32 v57, v76, v79
	v_mov_b32_e32 v58, v54
	v_add_f32_e32 v59, v76, v79
	v_mov_b32_e32 v61, v53
	v_mul_f32_e32 v63, v67, v45
	v_fmac_f32_e32 v58, 0x3f5db3d7, v57
	v_fmac_f32_e32 v54, 0xbf5db3d7, v57
	v_add_f32_e32 v57, v55, v76
	v_fmac_f32_e32 v55, -0.5, v59
	v_fmac_f32_e32 v53, 0x3f5db3d7, v78
	v_fmac_f32_e32 v61, 0xbf5db3d7, v78
	v_mul_f32_e32 v78, v66, v45
	v_fma_f32 v66, v66, v44, -v63
	v_add_f32_e32 v56, v104, v62
	v_sub_f32_e32 v62, v73, v62
	v_mov_b32_e32 v59, v55
	v_add_f32_e32 v63, v107, v68
	v_mul_f32_e32 v103, v65, v47
	v_mul_f32_e32 v108, v64, v47
	v_fmac_f32_e32 v77, v69, v50
	v_fmac_f32_e32 v59, 0xbf5db3d7, v62
	;; [unrolled: 1-line block ×3, first 2 shown]
	v_add_f32_e32 v62, v40, v107
	v_fma_f32 v40, -0.5, v63, v40
	v_fmac_f32_e32 v78, v67, v44
	v_fma_f32 v67, v64, v46, -v103
	v_fmac_f32_e32 v108, v65, v46
	v_sub_f32_e32 v63, v72, v77
	v_mov_b32_e32 v64, v40
	v_add_f32_e32 v65, v72, v77
	v_fmac_f32_e32 v64, 0x3f5db3d7, v63
	v_fmac_f32_e32 v40, 0xbf5db3d7, v63
	v_add_f32_e32 v63, v41, v72
	v_fmac_f32_e32 v41, -0.5, v65
	v_add_f32_e32 v62, v62, v68
	v_sub_f32_e32 v68, v107, v68
	v_mov_b32_e32 v65, v41
	v_fmac_f32_e32 v65, 0xbf5db3d7, v68
	v_fmac_f32_e32 v41, 0x3f5db3d7, v68
	v_add_f32_e32 v68, v105, v66
	v_add_f32_e32 v103, v68, v67
	;; [unrolled: 1-line block ×3, first 2 shown]
	v_fmac_f32_e32 v105, -0.5, v68
	v_sub_f32_e32 v68, v78, v108
	v_mov_b32_e32 v107, v105
	v_fmac_f32_e32 v107, 0x3f5db3d7, v68
	v_fmac_f32_e32 v105, 0xbf5db3d7, v68
	v_add_f32_e32 v68, v106, v78
	v_add_f32_e32 v104, v68, v108
	;; [unrolled: 1-line block ×3, first 2 shown]
	ds_write2_b64 v113, v[42:43], v[60:61] offset1:90
	ds_write_b64 v113, v[52:53] offset:1440
	v_mov_b32_e32 v42, 0x10e
	v_fmac_f32_e32 v106, -0.5, v68
	v_cndmask_b32_e32 v42, 0, v42, vcc
	v_sub_f32_e32 v66, v66, v67
	v_mov_b32_e32 v108, v106
	v_add_lshl_u32 v125, v70, v42, 3
	v_mul_u32_u24_e32 v42, 0x10e, v71
	v_add_f32_e32 v57, v57, v79
	v_add_f32_e32 v63, v63, v77
	v_fmac_f32_e32 v108, 0xbf5db3d7, v66
	v_fmac_f32_e32 v106, 0x3f5db3d7, v66
	v_add_lshl_u32 v126, v42, v75, 3
	ds_write2_b64 v125, v[56:57], v[58:59] offset1:90
	ds_write_b64 v125, v[54:55] offset:1440
	ds_write2_b64 v126, v[62:63], v[64:65] offset1:90
	ds_write_b64 v126, v[40:41] offset:1440
	s_and_saveexec_b64 s[12:13], s[0:1]
	s_cbranch_execz .LBB0_15
; %bb.14:
	v_add_u32_e32 v40, 0x1000, v124
	ds_write2_b64 v40, v[103:104], v[107:108] offset0:28 offset1:118
	ds_write_b64 v124, v[105:106] offset:5760
.LBB0_15:
	s_or_b64 exec, exec, s[12:13]
	v_add_u32_e32 v40, 0x400, v113
	v_add_u32_e32 v131, 0x1000, v113
	;; [unrolled: 1-line block ×3, first 2 shown]
	s_waitcnt lgkmcnt(0)
	s_barrier
	ds_read2_b64 v[64:67], v113 offset1:81
	ds_read2_b64 v[68:71], v40 offset0:34 offset1:142
	ds_read2_b64 v[72:75], v131 offset0:28 offset1:109
	;; [unrolled: 1-line block ×3, first 2 shown]
	ds_read_b64 v[111:112], v113 offset:5616
	s_and_saveexec_b64 s[12:13], s[0:1]
	s_cbranch_execz .LBB0_17
; %bb.16:
	ds_read_b64 v[103:104], v113 offset:1944
	ds_read_b64 v[107:108], v113 offset:4104
	;; [unrolled: 1-line block ×3, first 2 shown]
.LBB0_17:
	s_or_b64 exec, exec, s[12:13]
	v_lshlrev_b32_e32 v40, 4, v130
	global_load_dwordx4 v[52:55], v[109:110], off offset:2136
	global_load_dwordx4 v[56:59], v40, s[4:5] offset:2136
	v_lshlrev_b32_e32 v40, 4, v129
	s_movk_i32 s12, 0xffe5
	global_load_dwordx4 v[60:63], v40, s[4:5] offset:2136
	v_add_co_u32_e32 v40, vcc, s12, v114
	v_addc_co_u32_e64 v41, s[12:13], 0, -1, vcc
	v_cndmask_b32_e64 v40, v40, v127, s[0:1]
	v_cndmask_b32_e64 v41, v41, v128, s[0:1]
	v_lshlrev_b64 v[40:41], 4, v[40:41]
	v_mov_b32_e32 v42, s5
	v_add_co_u32_e32 v40, vcc, s4, v40
	v_addc_co_u32_e32 v41, vcc, v42, v41, vcc
	global_load_dwordx4 v[40:43], v[40:41], off offset:2136
	s_waitcnt vmcnt(3) lgkmcnt(3)
	v_mul_f32_e32 v109, v71, v53
	v_mul_f32_e32 v110, v70, v53
	s_waitcnt lgkmcnt(2)
	v_mul_f32_e32 v127, v73, v55
	v_mul_f32_e32 v128, v72, v55
	v_fma_f32 v70, v70, v52, -v109
	v_fmac_f32_e32 v110, v71, v52
	v_fma_f32 v71, v72, v54, -v127
	v_fmac_f32_e32 v128, v73, v54
	s_waitcnt vmcnt(2) lgkmcnt(1)
	v_mul_f32_e32 v72, v77, v57
	v_mul_f32_e32 v73, v76, v57
	;; [unrolled: 1-line block ×4, first 2 shown]
	s_waitcnt vmcnt(1)
	v_mul_f32_e32 v130, v78, v61
	v_mul_f32_e32 v129, v79, v61
	v_fma_f32 v72, v76, v56, -v72
	v_fmac_f32_e32 v73, v77, v56
	v_fma_f32 v74, v74, v58, -v109
	v_fmac_f32_e32 v127, v75, v58
	v_fmac_f32_e32 v130, v79, v60
	v_add_f32_e32 v76, v70, v71
	v_add_f32_e32 v79, v110, v128
	v_fma_f32 v129, v78, v60, -v129
	v_add_f32_e32 v75, v64, v70
	v_add_f32_e32 v78, v65, v110
	v_fma_f32 v64, -0.5, v76, v64
	v_fma_f32 v65, -0.5, v79, v65
	v_add_f32_e32 v76, v72, v74
	v_add_f32_e32 v79, v73, v127
	s_waitcnt lgkmcnt(0)
	v_mul_f32_e32 v134, v111, v63
	v_sub_f32_e32 v109, v70, v71
	v_add_f32_e32 v70, v75, v71
	v_add_f32_e32 v71, v78, v128
	;; [unrolled: 1-line block ×4, first 2 shown]
	v_fma_f32 v66, -0.5, v76, v66
	v_fmac_f32_e32 v67, -0.5, v79
	v_mul_f32_e32 v133, v112, v63
	v_fmac_f32_e32 v134, v112, v62
	v_sub_f32_e32 v77, v110, v128
	v_sub_f32_e32 v110, v73, v127
	;; [unrolled: 1-line block ×3, first 2 shown]
	v_add_f32_e32 v74, v75, v74
	v_add_f32_e32 v75, v78, v127
	v_mov_b32_e32 v78, v66
	v_mov_b32_e32 v79, v67
	;; [unrolled: 1-line block ×3, first 2 shown]
	v_fmac_f32_e32 v66, 0xbf5db3d7, v110
	v_fmac_f32_e32 v67, 0x3f5db3d7, v112
	;; [unrolled: 1-line block ×4, first 2 shown]
	s_waitcnt vmcnt(0)
	v_mul_f32_e32 v112, v107, v41
	v_mul_f32_e32 v110, v106, v43
	v_fma_f32 v111, v111, v62, -v133
	v_add_f32_e32 v128, v68, v129
	v_fmac_f32_e32 v64, 0xbf5db3d7, v77
	v_fmac_f32_e32 v72, 0x3f5db3d7, v77
	v_mul_f32_e32 v77, v108, v41
	v_mul_f32_e32 v127, v105, v43
	v_fmac_f32_e32 v112, v108, v40
	v_fma_f32 v108, v105, v42, -v110
	v_add_f32_e32 v105, v130, v134
	v_add_f32_e32 v76, v128, v111
	v_fma_f32 v128, v107, v40, -v77
	v_add_f32_e32 v77, v69, v130
	v_fmac_f32_e32 v69, -0.5, v105
	v_fmac_f32_e32 v127, v106, v42
	v_sub_f32_e32 v105, v129, v111
	v_mov_b32_e32 v110, v69
	v_add_f32_e32 v106, v128, v108
	v_fmac_f32_e32 v110, 0xbf5db3d7, v105
	v_fmac_f32_e32 v69, 0x3f5db3d7, v105
	v_add_f32_e32 v105, v103, v128
	v_fmac_f32_e32 v103, -0.5, v106
	v_add_f32_e32 v133, v129, v111
	v_sub_f32_e32 v106, v112, v127
	v_mov_b32_e32 v107, v103
	v_add_f32_e32 v111, v112, v127
	v_fmac_f32_e32 v107, 0x3f5db3d7, v106
	v_fmac_f32_e32 v103, 0xbf5db3d7, v106
	v_add_f32_e32 v106, v104, v112
	v_fmac_f32_e32 v104, -0.5, v111
	v_mov_b32_e32 v73, v65
	v_fma_f32 v68, -0.5, v133, v68
	v_add_f32_e32 v105, v105, v108
	v_sub_f32_e32 v111, v128, v108
	v_mov_b32_e32 v108, v104
	v_sub_f32_e32 v135, v130, v134
	v_fmac_f32_e32 v65, 0x3f5db3d7, v109
	v_fmac_f32_e32 v73, 0xbf5db3d7, v109
	v_mov_b32_e32 v109, v68
	v_add_f32_e32 v106, v106, v127
	v_fmac_f32_e32 v108, 0xbf5db3d7, v111
	v_fmac_f32_e32 v104, 0x3f5db3d7, v111
	;; [unrolled: 1-line block ×4, first 2 shown]
	v_add_f32_e32 v77, v77, v134
	ds_write_b64 v113, v[72:73] offset:2160
	ds_write_b64 v113, v[64:65] offset:4320
	ds_write2_b64 v113, v[70:71], v[74:75] offset1:81
	ds_write_b64 v113, v[76:77] offset:1296
	ds_write2_b64 v132, v[78:79], v[109:110] offset0:95 offset1:176
	ds_write2_b64 v131, v[66:67], v[68:69] offset0:109 offset1:190
	s_and_saveexec_b64 s[4:5], s[0:1]
	s_cbranch_execz .LBB0_19
; %bb.18:
	ds_write_b64 v113, v[105:106] offset:1944
	ds_write_b64 v113, v[107:108] offset:4104
	;; [unrolled: 1-line block ×3, first 2 shown]
.LBB0_19:
	s_or_b64 exec, exec, s[4:5]
	v_mov_b32_e32 v64, s17
	v_addc_co_u32_e64 v68, vcc, 0, v64, s[2:3]
	v_add_co_u32_e32 v64, vcc, 0x1950, v80
	v_addc_co_u32_e32 v65, vcc, 0, v68, vcc
	v_add_co_u32_e32 v66, vcc, 0x1000, v80
	v_addc_co_u32_e32 v67, vcc, 0, v68, vcc
	s_waitcnt lgkmcnt(0)
	s_barrier
	global_load_dwordx2 v[74:75], v[66:67], off offset:2384
	global_load_dwordx2 v[76:77], v[64:65], off offset:648
	s_movk_i32 s2, 0x2000
	v_add_co_u32_e32 v66, vcc, s2, v80
	v_addc_co_u32_e32 v67, vcc, 0, v68, vcc
	global_load_dwordx2 v[78:79], v[66:67], off offset:3904
	global_load_dwordx2 v[127:128], v[64:65], off offset:2160
	;; [unrolled: 1-line block ×6, first 2 shown]
                                        ; kill: killed $vgpr66 killed $vgpr67
	global_load_dwordx2 v[137:138], v[64:65], off offset:3456
	ds_read2_b64 v[67:70], v113 offset1:81
	ds_read_b64 v[109:110], v113 offset:5616
	v_add_u32_e32 v66, 0x400, v113
	v_add_u32_e32 v72, 0x800, v113
	;; [unrolled: 1-line block ×3, first 2 shown]
	s_movk_i32 s4, 0x1000
	v_add_u32_e32 v143, 0xc00, v113
	s_waitcnt vmcnt(6) lgkmcnt(0)
	v_mul_f32_e32 v142, v109, v79
	v_mul_f32_e32 v71, v68, v75
	;; [unrolled: 1-line block ×3, first 2 shown]
	v_fma_f32 v111, v67, v74, -v71
	v_fmac_f32_e32 v112, v68, v74
	v_mul_f32_e32 v75, v70, v77
	v_mul_f32_e32 v140, v69, v77
	;; [unrolled: 1-line block ×3, first 2 shown]
	ds_write_b64 v113, v[111:112]
	v_fma_f32 v139, v69, v76, -v75
	v_fmac_f32_e32 v140, v70, v76
	ds_read2_b64 v[67:70], v66 offset0:34 offset1:142
	v_fma_f32 v141, v109, v78, -v77
	v_fmac_f32_e32 v142, v110, v78
	ds_read2_b64 v[109:112], v72 offset0:95 offset1:176
	ds_read2_b64 v[74:77], v73 offset0:28 offset1:109
	s_waitcnt vmcnt(5) lgkmcnt(2)
	v_mul_f32_e32 v78, v70, v128
	v_mul_f32_e32 v79, v69, v128
	s_waitcnt vmcnt(1)
	v_mul_f32_e32 v147, v68, v136
	s_waitcnt lgkmcnt(1)
	v_mul_f32_e32 v145, v110, v132
	v_mul_f32_e32 v128, v109, v132
	s_waitcnt lgkmcnt(0)
	v_mul_f32_e32 v144, v75, v130
	v_mul_f32_e32 v71, v74, v130
	;; [unrolled: 1-line block ×5, first 2 shown]
	s_waitcnt vmcnt(0)
	v_mul_f32_e32 v136, v112, v138
	v_mul_f32_e32 v134, v111, v138
	v_fma_f32 v78, v69, v127, -v78
	v_fmac_f32_e32 v79, v70, v127
	v_fma_f32 v127, v109, v131, -v145
	v_fmac_f32_e32 v128, v110, v131
	;; [unrolled: 2-line block ×6, first 2 shown]
	ds_write2_b64 v72, v[78:79], v[127:128] offset0:14 offset1:95
	ds_write2_b64 v113, v[139:140], v[131:132] offset0:81 offset1:162
	;; [unrolled: 1-line block ×4, first 2 shown]
	s_and_saveexec_b64 s[2:3], s[0:1]
	s_cbranch_execz .LBB0_21
; %bb.20:
	global_load_dwordx2 v[67:68], v[64:65], off offset:1944
	v_add_co_u32_e32 v64, vcc, s4, v64
	v_addc_co_u32_e32 v65, vcc, 0, v65, vcc
	global_load_dwordx2 v[69:70], v[64:65], off offset:8
	global_load_dwordx2 v[74:75], v[64:65], off offset:2168
	ds_read_b64 v[64:65], v113 offset:1944
	ds_read_b64 v[76:77], v113 offset:4104
	;; [unrolled: 1-line block ×3, first 2 shown]
	s_waitcnt vmcnt(2) lgkmcnt(2)
	v_mul_f32_e32 v71, v65, v68
	v_mul_f32_e32 v110, v64, v68
	v_fma_f32 v109, v64, v67, -v71
	v_fmac_f32_e32 v110, v65, v67
	s_waitcnt vmcnt(1) lgkmcnt(1)
	v_mul_f32_e32 v64, v77, v70
	v_mul_f32_e32 v65, v76, v70
	s_waitcnt vmcnt(0) lgkmcnt(0)
	v_mul_f32_e32 v67, v79, v75
	v_mul_f32_e32 v68, v78, v75
	v_fma_f32 v64, v76, v69, -v64
	v_fmac_f32_e32 v65, v77, v69
	ds_write_b64 v113, v[109:110] offset:1944
	v_fma_f32 v67, v78, v74, -v67
	v_fmac_f32_e32 v68, v79, v74
	ds_write_b64 v113, v[64:65] offset:4104
	ds_write_b64 v113, v[67:68] offset:6264
.LBB0_21:
	s_or_b64 exec, exec, s[2:3]
	s_waitcnt lgkmcnt(0)
	s_barrier
	ds_read2_b64 v[68:71], v113 offset1:81
	ds_read2_b64 v[64:67], v66 offset0:34 offset1:142
	ds_read2_b64 v[76:79], v73 offset0:28 offset1:109
	;; [unrolled: 1-line block ×3, first 2 shown]
	ds_read_b64 v[109:110], v113 offset:5616
	s_and_saveexec_b64 s[2:3], s[0:1]
	s_cbranch_execz .LBB0_23
; %bb.22:
	ds_read_b64 v[105:106], v113 offset:1944
	ds_read_b64 v[107:108], v113 offset:4104
	;; [unrolled: 1-line block ×3, first 2 shown]
.LBB0_23:
	s_or_b64 exec, exec, s[2:3]
	s_waitcnt lgkmcnt(2)
	v_add_f32_e32 v112, v66, v76
	v_fma_f32 v127, -0.5, v112, v68
	v_add_f32_e32 v111, v68, v66
	v_sub_f32_e32 v68, v67, v77
	v_mov_b32_e32 v129, v127
	v_fmac_f32_e32 v129, 0xbf5db3d7, v68
	v_fmac_f32_e32 v127, 0x3f5db3d7, v68
	v_add_f32_e32 v68, v69, v67
	v_add_f32_e32 v67, v67, v77
	v_fma_f32 v128, -0.5, v67, v69
	v_sub_f32_e32 v66, v66, v76
	v_mov_b32_e32 v130, v128
	v_fmac_f32_e32 v130, 0x3f5db3d7, v66
	v_fmac_f32_e32 v128, 0xbf5db3d7, v66
	s_waitcnt lgkmcnt(1)
	v_add_f32_e32 v66, v70, v72
	v_add_f32_e32 v111, v111, v76
	;; [unrolled: 1-line block ×4, first 2 shown]
	v_fma_f32 v70, -0.5, v66, v70
	v_sub_f32_e32 v66, v73, v79
	v_mov_b32_e32 v131, v70
	v_fmac_f32_e32 v131, 0xbf5db3d7, v66
	v_fmac_f32_e32 v70, 0x3f5db3d7, v66
	v_add_f32_e32 v66, v71, v73
	v_add_f32_e32 v112, v68, v77
	;; [unrolled: 1-line block ×4, first 2 shown]
	v_fmac_f32_e32 v71, -0.5, v66
	v_sub_f32_e32 v66, v72, v78
	v_mov_b32_e32 v132, v71
	v_fmac_f32_e32 v132, 0x3f5db3d7, v66
	v_fmac_f32_e32 v71, 0xbf5db3d7, v66
	v_add_f32_e32 v66, v64, v74
	s_waitcnt lgkmcnt(0)
	v_add_f32_e32 v72, v66, v109
	v_add_f32_e32 v66, v74, v109
	v_fma_f32 v64, -0.5, v66, v64
	v_sub_f32_e32 v66, v75, v110
	v_mov_b32_e32 v78, v64
	v_fmac_f32_e32 v78, 0xbf5db3d7, v66
	v_fmac_f32_e32 v64, 0x3f5db3d7, v66
	v_add_f32_e32 v66, v65, v75
	v_add_f32_e32 v73, v66, v110
	;; [unrolled: 1-line block ×3, first 2 shown]
	v_fmac_f32_e32 v65, -0.5, v66
	v_sub_f32_e32 v66, v74, v109
	v_mov_b32_e32 v79, v65
	v_fmac_f32_e32 v79, 0x3f5db3d7, v66
	v_fmac_f32_e32 v65, 0xbf5db3d7, v66
	v_add_f32_e32 v66, v107, v103
	v_fma_f32 v66, -0.5, v66, v105
	v_sub_f32_e32 v67, v108, v104
	v_mov_b32_e32 v68, v66
	v_fmac_f32_e32 v68, 0xbf5db3d7, v67
	v_fmac_f32_e32 v66, 0x3f5db3d7, v67
	v_add_f32_e32 v67, v108, v104
	v_fma_f32 v67, -0.5, v67, v106
	v_sub_f32_e32 v74, v107, v103
	v_mov_b32_e32 v69, v67
	v_fmac_f32_e32 v69, 0x3f5db3d7, v74
	v_fmac_f32_e32 v67, 0xbf5db3d7, v74
	s_barrier
	ds_write2_b64 v115, v[111:112], v[129:130] offset1:1
	ds_write_b64 v115, v[127:128] offset:16
	ds_write2_b64 v116, v[76:77], v[131:132] offset1:1
	ds_write_b64 v116, v[70:71] offset:16
	;; [unrolled: 2-line block ×3, first 2 shown]
	s_and_saveexec_b64 s[2:3], s[0:1]
	s_cbranch_execz .LBB0_25
; %bb.24:
	v_add_f32_e32 v64, v106, v108
	v_add_f32_e32 v65, v64, v104
	;; [unrolled: 1-line block ×4, first 2 shown]
	v_lshlrev_b32_e32 v70, 3, v117
	ds_write2_b64 v70, v[64:65], v[68:69] offset1:1
	ds_write_b64 v70, v[66:67] offset:16
.LBB0_25:
	s_or_b64 exec, exec, s[2:3]
	s_waitcnt lgkmcnt(0)
	s_barrier
	ds_read2_b64 v[70:73], v113 offset1:81
	ds_read2_b64 v[74:77], v113 offset0:162 offset1:243
	v_add_u32_e32 v78, 0x800, v113
	ds_read2_b64 v[103:106], v78 offset0:68 offset1:149
	v_add_u32_e32 v64, 0xc00, v113
	ds_read2_b64 v[107:110], v64 offset0:102 offset1:183
	s_waitcnt lgkmcnt(3)
	v_mul_f32_e32 v64, v13, v73
	v_mul_f32_e32 v13, v13, v72
	v_add_u32_e32 v79, 0x1000, v113
	v_fmac_f32_e32 v64, v12, v72
	v_fma_f32 v12, v12, v73, -v13
	s_waitcnt lgkmcnt(2)
	v_mul_f32_e32 v13, v15, v75
	v_mul_f32_e32 v15, v15, v74
	ds_read2_b64 v[115:118], v79 offset0:136 offset1:217
	v_fmac_f32_e32 v13, v14, v74
	v_fma_f32 v14, v14, v75, -v15
	v_mul_f32_e32 v15, v9, v77
	v_mul_f32_e32 v9, v9, v76
	v_fmac_f32_e32 v15, v8, v76
	v_fma_f32 v8, v8, v77, -v9
	s_waitcnt lgkmcnt(2)
	v_mul_f32_e32 v9, v11, v104
	v_mul_f32_e32 v11, v11, v103
	v_fmac_f32_e32 v9, v10, v103
	v_fma_f32 v10, v10, v104, -v11
	v_mul_f32_e32 v11, v5, v106
	v_mul_f32_e32 v5, v5, v105
	v_fmac_f32_e32 v11, v4, v105
	v_fma_f32 v4, v4, v106, -v5
	s_waitcnt lgkmcnt(1)
	v_mul_f32_e32 v5, v7, v108
	v_mul_f32_e32 v7, v7, v107
	;; [unrolled: 9-line block ×3, first 2 shown]
	v_add_f32_e32 v73, v9, v5
	v_fmac_f32_e32 v1, v2, v115
	v_fma_f32 v2, v2, v116, -v3
	v_fma_f32 v73, -0.5, v73, v70
	v_mul_f32_e32 v3, v102, v118
	v_mul_f32_e32 v65, v102, v117
	v_sub_f32_e32 v74, v14, v2
	v_mov_b32_e32 v75, v73
	v_fmac_f32_e32 v3, v101, v117
	v_fma_f32 v65, v101, v118, -v65
	v_fmac_f32_e32 v75, 0xbf737871, v74
	v_sub_f32_e32 v76, v10, v6
	v_sub_f32_e32 v77, v13, v9
	;; [unrolled: 1-line block ×3, first 2 shown]
	v_fmac_f32_e32 v73, 0x3f737871, v74
	v_fmac_f32_e32 v75, 0xbf167918, v76
	v_add_f32_e32 v77, v77, v101
	v_fmac_f32_e32 v73, 0x3f167918, v76
	v_fmac_f32_e32 v75, 0x3e9e377a, v77
	;; [unrolled: 1-line block ×3, first 2 shown]
	v_add_f32_e32 v77, v13, v1
	v_add_f32_e32 v72, v70, v13
	v_fma_f32 v70, -0.5, v77, v70
	v_mov_b32_e32 v77, v70
	v_add_f32_e32 v72, v72, v9
	v_fmac_f32_e32 v77, 0x3f737871, v76
	v_fmac_f32_e32 v70, 0xbf737871, v76
	v_add_f32_e32 v76, v10, v6
	v_add_f32_e32 v72, v72, v5
	v_sub_f32_e32 v101, v9, v13
	v_sub_f32_e32 v102, v5, v1
	v_fma_f32 v76, -0.5, v76, v71
	v_add_f32_e32 v72, v72, v1
	v_fmac_f32_e32 v77, 0xbf167918, v74
	v_add_f32_e32 v101, v101, v102
	v_fmac_f32_e32 v70, 0x3f167918, v74
	v_sub_f32_e32 v1, v13, v1
	v_mov_b32_e32 v13, v76
	v_fmac_f32_e32 v77, 0x3e9e377a, v101
	v_fmac_f32_e32 v70, 0x3e9e377a, v101
	;; [unrolled: 1-line block ×3, first 2 shown]
	v_sub_f32_e32 v5, v9, v5
	v_sub_f32_e32 v9, v14, v10
	v_sub_f32_e32 v101, v2, v6
	v_fmac_f32_e32 v76, 0xbf737871, v1
	v_fmac_f32_e32 v13, 0x3f167918, v5
	v_add_f32_e32 v9, v9, v101
	v_fmac_f32_e32 v76, 0xbf167918, v5
	v_fmac_f32_e32 v13, 0x3e9e377a, v9
	;; [unrolled: 1-line block ×3, first 2 shown]
	v_add_f32_e32 v9, v14, v2
	v_add_f32_e32 v74, v71, v14
	v_fma_f32 v71, -0.5, v9, v71
	v_mov_b32_e32 v101, v71
	v_fmac_f32_e32 v101, 0xbf737871, v5
	v_fmac_f32_e32 v71, 0x3f737871, v5
	;; [unrolled: 1-line block ×4, first 2 shown]
	v_add_f32_e32 v1, v64, v15
	v_add_f32_e32 v74, v74, v10
	;; [unrolled: 1-line block ×6, first 2 shown]
	v_sub_f32_e32 v9, v10, v14
	v_sub_f32_e32 v2, v6, v2
	v_add_f32_e32 v10, v1, v3
	v_add_f32_e32 v1, v11, v7
	v_add_f32_e32 v2, v9, v2
	v_fma_f32 v9, -0.5, v1, v64
	v_sub_f32_e32 v1, v8, v65
	v_mov_b32_e32 v5, v9
	v_fmac_f32_e32 v101, 0x3e9e377a, v2
	v_fmac_f32_e32 v71, 0x3e9e377a, v2
	;; [unrolled: 1-line block ×3, first 2 shown]
	v_sub_f32_e32 v2, v4, v0
	v_sub_f32_e32 v6, v15, v11
	;; [unrolled: 1-line block ×3, first 2 shown]
	v_fmac_f32_e32 v9, 0x3f737871, v1
	v_fmac_f32_e32 v5, 0xbf167918, v2
	v_add_f32_e32 v6, v6, v14
	v_fmac_f32_e32 v9, 0x3f167918, v2
	v_fmac_f32_e32 v5, 0x3e9e377a, v6
	;; [unrolled: 1-line block ×3, first 2 shown]
	v_add_f32_e32 v6, v15, v3
	v_fmac_f32_e32 v64, -0.5, v6
	v_mov_b32_e32 v14, v64
	v_fmac_f32_e32 v14, 0x3f737871, v2
	v_fmac_f32_e32 v64, 0xbf737871, v2
	;; [unrolled: 1-line block ×4, first 2 shown]
	v_add_f32_e32 v1, v12, v8
	v_add_f32_e32 v1, v1, v4
	v_sub_f32_e32 v6, v11, v15
	v_sub_f32_e32 v102, v7, v3
	v_add_f32_e32 v1, v1, v0
	v_add_f32_e32 v6, v6, v102
	;; [unrolled: 1-line block ×4, first 2 shown]
	v_fma_f32 v103, -0.5, v1, v12
	v_sub_f32_e32 v1, v15, v3
	v_mov_b32_e32 v3, v103
	v_fmac_f32_e32 v14, 0x3e9e377a, v6
	v_fmac_f32_e32 v64, 0x3e9e377a, v6
	;; [unrolled: 1-line block ×3, first 2 shown]
	v_sub_f32_e32 v2, v11, v7
	v_sub_f32_e32 v6, v8, v4
	;; [unrolled: 1-line block ×3, first 2 shown]
	v_fmac_f32_e32 v103, 0xbf737871, v1
	v_fmac_f32_e32 v3, 0x3f167918, v2
	v_add_f32_e32 v6, v6, v7
	v_fmac_f32_e32 v103, 0xbf167918, v2
	v_fmac_f32_e32 v3, 0x3e9e377a, v6
	;; [unrolled: 1-line block ×3, first 2 shown]
	v_add_f32_e32 v6, v8, v65
	v_fmac_f32_e32 v12, -0.5, v6
	v_mov_b32_e32 v7, v12
	v_fmac_f32_e32 v7, 0xbf737871, v2
	v_sub_f32_e32 v4, v4, v8
	v_sub_f32_e32 v0, v0, v65
	v_fmac_f32_e32 v12, 0x3f737871, v2
	v_fmac_f32_e32 v7, 0x3f167918, v1
	v_add_f32_e32 v0, v4, v0
	v_fmac_f32_e32 v12, 0xbf167918, v1
	v_fmac_f32_e32 v7, 0x3e9e377a, v0
	;; [unrolled: 1-line block ×3, first 2 shown]
	v_mul_f32_e32 v11, 0xbf167918, v3
	v_mul_f32_e32 v105, 0x3f4f1bbd, v3
	v_fmac_f32_e32 v11, 0x3f4f1bbd, v5
	v_mul_f32_e32 v15, 0xbf737871, v7
	v_mul_f32_e32 v65, 0xbf737871, v12
	;; [unrolled: 1-line block ×3, first 2 shown]
	v_fmac_f32_e32 v105, 0x3f167918, v5
	v_mul_f32_e32 v106, 0x3e9e377a, v7
	v_mul_f32_e32 v107, 0xbe9e377a, v12
	;; [unrolled: 1-line block ×3, first 2 shown]
	v_add_f32_e32 v0, v72, v10
	v_add_f32_e32 v2, v75, v11
	v_fmac_f32_e32 v15, 0x3e9e377a, v14
	v_fmac_f32_e32 v65, 0xbe9e377a, v64
	;; [unrolled: 1-line block ×3, first 2 shown]
	v_add_f32_e32 v1, v74, v102
	v_add_f32_e32 v3, v13, v105
	v_fmac_f32_e32 v106, 0x3f737871, v14
	v_fmac_f32_e32 v107, 0x3f737871, v64
	;; [unrolled: 1-line block ×3, first 2 shown]
	v_add_f32_e32 v4, v77, v15
	v_add_f32_e32 v6, v70, v65
	;; [unrolled: 1-line block ×6, first 2 shown]
	v_sub_f32_e32 v10, v72, v10
	v_sub_f32_e32 v12, v75, v11
	;; [unrolled: 1-line block ×10, first 2 shown]
	s_barrier
	ds_write2_b64 v119, v[0:1], v[2:3] offset1:3
	ds_write2_b64 v119, v[4:5], v[6:7] offset0:6 offset1:9
	ds_write2_b64 v119, v[8:9], v[10:11] offset0:12 offset1:15
	;; [unrolled: 1-line block ×4, first 2 shown]
	v_add_u32_e32 v0, 0x400, v113
	s_waitcnt lgkmcnt(0)
	s_barrier
	ds_read2_b64 v[4:7], v113 offset1:81
	ds_read2_b64 v[0:3], v0 offset0:34 offset1:142
	ds_read2_b64 v[12:15], v79 offset0:28 offset1:109
	ds_read2_b64 v[8:11], v78 offset0:95 offset1:176
	ds_read_b64 v[70:71], v113 offset:5616
	s_and_saveexec_b64 s[2:3], s[0:1]
	s_cbranch_execz .LBB0_27
; %bb.26:
	ds_read_b64 v[64:65], v113 offset:1944
	ds_read_b64 v[68:69], v113 offset:4104
	;; [unrolled: 1-line block ×3, first 2 shown]
.LBB0_27:
	s_or_b64 exec, exec, s[2:3]
	s_waitcnt lgkmcnt(3)
	v_mul_f32_e32 v72, v21, v3
	v_fmac_f32_e32 v72, v20, v2
	v_mul_f32_e32 v2, v21, v2
	v_fma_f32 v20, v20, v3, -v2
	s_waitcnt lgkmcnt(2)
	v_mul_f32_e32 v21, v23, v13
	v_mul_f32_e32 v2, v23, v12
	v_fmac_f32_e32 v21, v22, v12
	v_fma_f32 v12, v22, v13, -v2
	s_waitcnt lgkmcnt(1)
	v_mul_f32_e32 v13, v17, v9
	v_mul_f32_e32 v2, v17, v8
	v_fmac_f32_e32 v13, v16, v8
	v_fma_f32 v16, v16, v9, -v2
	v_mul_f32_e32 v17, v19, v15
	v_mul_f32_e32 v2, v19, v14
	v_fmac_f32_e32 v17, v18, v14
	v_fma_f32 v14, v18, v15, -v2
	v_mul_f32_e32 v2, v25, v10
	v_fma_f32 v19, v24, v11, -v2
	s_waitcnt lgkmcnt(0)
	v_mul_f32_e32 v2, v27, v70
	v_fma_f32 v23, v26, v71, -v2
	v_mul_f32_e32 v2, v29, v68
	v_mul_f32_e32 v18, v25, v11
	v_fma_f32 v25, v28, v69, -v2
	v_mul_f32_e32 v2, v31, v66
	v_add_f32_e32 v3, v72, v21
	v_mul_f32_e32 v22, v27, v71
	v_fma_f32 v27, v30, v67, -v2
	v_add_f32_e32 v2, v4, v72
	v_fma_f32 v4, -0.5, v3, v4
	v_sub_f32_e32 v3, v20, v12
	v_mov_b32_e32 v8, v4
	v_add_f32_e32 v9, v20, v12
	v_fmac_f32_e32 v8, 0xbf5db3d7, v3
	v_fmac_f32_e32 v4, 0x3f5db3d7, v3
	v_add_f32_e32 v3, v5, v20
	v_fma_f32 v5, -0.5, v9, v5
	v_fmac_f32_e32 v18, v24, v10
	v_sub_f32_e32 v10, v72, v21
	v_mov_b32_e32 v9, v5
	v_add_f32_e32 v11, v13, v17
	v_fmac_f32_e32 v9, 0x3f5db3d7, v10
	v_fmac_f32_e32 v5, 0xbf5db3d7, v10
	v_add_f32_e32 v10, v6, v13
	v_fma_f32 v6, -0.5, v11, v6
	v_add_f32_e32 v3, v3, v12
	v_sub_f32_e32 v11, v16, v14
	v_mov_b32_e32 v12, v6
	v_fmac_f32_e32 v12, 0xbf5db3d7, v11
	v_fmac_f32_e32 v6, 0x3f5db3d7, v11
	v_add_f32_e32 v11, v7, v16
	v_add_f32_e32 v11, v11, v14
	;; [unrolled: 1-line block ×3, first 2 shown]
	v_fmac_f32_e32 v22, v26, v70
	v_fmac_f32_e32 v7, -0.5, v14
	v_sub_f32_e32 v14, v13, v17
	v_mov_b32_e32 v13, v7
	v_add_f32_e32 v15, v18, v22
	v_fmac_f32_e32 v13, 0x3f5db3d7, v14
	v_fmac_f32_e32 v7, 0xbf5db3d7, v14
	v_add_f32_e32 v14, v0, v18
	v_fma_f32 v0, -0.5, v15, v0
	v_mul_f32_e32 v24, v29, v69
	v_mul_f32_e32 v26, v31, v67
	v_sub_f32_e32 v15, v19, v23
	v_mov_b32_e32 v20, v0
	v_add_f32_e32 v16, v19, v23
	v_fmac_f32_e32 v24, v28, v68
	v_fmac_f32_e32 v26, v30, v66
	;; [unrolled: 1-line block ×4, first 2 shown]
	v_add_f32_e32 v15, v1, v19
	v_fmac_f32_e32 v1, -0.5, v16
	v_add_f32_e32 v2, v2, v21
	v_add_f32_e32 v10, v10, v17
	v_sub_f32_e32 v16, v18, v22
	v_mov_b32_e32 v21, v1
	v_add_f32_e32 v17, v24, v26
	v_fmac_f32_e32 v21, 0x3f5db3d7, v16
	v_fmac_f32_e32 v1, 0xbf5db3d7, v16
	v_add_f32_e32 v16, v64, v24
	v_fmac_f32_e32 v64, -0.5, v17
	v_sub_f32_e32 v17, v25, v27
	v_mov_b32_e32 v18, v64
	v_add_f32_e32 v19, v25, v27
	v_fmac_f32_e32 v18, 0xbf5db3d7, v17
	v_fmac_f32_e32 v64, 0x3f5db3d7, v17
	v_add_f32_e32 v17, v65, v25
	v_fmac_f32_e32 v65, -0.5, v19
	v_add_f32_e32 v14, v14, v22
	v_sub_f32_e32 v22, v24, v26
	v_mov_b32_e32 v19, v65
	v_add_f32_e32 v16, v16, v26
	v_add_f32_e32 v17, v17, v27
	v_fmac_f32_e32 v19, 0x3f5db3d7, v22
	v_fmac_f32_e32 v65, 0xbf5db3d7, v22
	v_add_f32_e32 v15, v15, v23
	s_barrier
	ds_write2_b64 v121, v[2:3], v[8:9] offset1:30
	ds_write_b64 v121, v[4:5] offset:480
	ds_write2_b64 v122, v[10:11], v[12:13] offset1:30
	ds_write_b64 v122, v[6:7] offset:480
	;; [unrolled: 2-line block ×3, first 2 shown]
	s_and_saveexec_b64 s[2:3], s[0:1]
	s_cbranch_execz .LBB0_29
; %bb.28:
	v_add_u32_e32 v0, 0x1000, v120
	ds_write2_b64 v0, v[16:17], v[18:19] offset0:208 offset1:238
	ds_write_b64 v120, v[64:65] offset:6240
.LBB0_29:
	s_or_b64 exec, exec, s[2:3]
	v_add_u32_e32 v8, 0x1000, v113
	s_waitcnt lgkmcnt(0)
	s_barrier
	v_add_u32_e32 v0, 0x400, v113
	ds_read2_b64 v[12:15], v8 offset0:28 offset1:109
	v_add_u32_e32 v8, 0x800, v113
	ds_read2_b64 v[4:7], v113 offset1:81
	ds_read2_b64 v[0:3], v0 offset0:34 offset1:142
	ds_read2_b64 v[8:11], v8 offset0:95 offset1:176
	ds_read_b64 v[20:21], v113 offset:5616
	s_and_saveexec_b64 s[2:3], s[0:1]
	s_cbranch_execz .LBB0_31
; %bb.30:
	ds_read_b64 v[16:17], v113 offset:1944
	ds_read_b64 v[18:19], v113 offset:4104
	;; [unrolled: 1-line block ×3, first 2 shown]
.LBB0_31:
	s_or_b64 exec, exec, s[2:3]
	s_waitcnt lgkmcnt(2)
	v_mul_f32_e32 v22, v33, v3
	v_fmac_f32_e32 v22, v32, v2
	v_mul_f32_e32 v2, v33, v2
	v_fma_f32 v23, v32, v3, -v2
	v_mul_f32_e32 v24, v35, v13
	v_mul_f32_e32 v2, v35, v12
	v_fmac_f32_e32 v24, v34, v12
	v_fma_f32 v12, v34, v13, -v2
	s_waitcnt lgkmcnt(1)
	v_mul_f32_e32 v2, v37, v8
	v_fma_f32 v25, v36, v9, -v2
	v_mul_f32_e32 v26, v39, v15
	v_mul_f32_e32 v2, v39, v14
	v_fmac_f32_e32 v26, v38, v14
	v_fma_f32 v14, v38, v15, -v2
	v_mul_f32_e32 v2, v49, v10
	v_fma_f32 v28, v48, v11, -v2
	s_waitcnt lgkmcnt(0)
	v_mul_f32_e32 v29, v51, v21
	v_mul_f32_e32 v2, v51, v20
	v_fmac_f32_e32 v29, v50, v20
	v_fma_f32 v20, v50, v21, -v2
	v_mul_f32_e32 v2, v45, v18
	v_fma_f32 v30, v44, v19, -v2
	v_mul_f32_e32 v2, v47, v64
	v_add_f32_e32 v3, v22, v24
	v_mul_f32_e32 v13, v37, v9
	v_fma_f32 v32, v46, v65, -v2
	v_add_f32_e32 v2, v4, v22
	v_fma_f32 v4, -0.5, v3, v4
	v_fmac_f32_e32 v13, v36, v8
	v_sub_f32_e32 v3, v23, v12
	v_mov_b32_e32 v8, v4
	v_add_f32_e32 v9, v23, v12
	v_mul_f32_e32 v27, v49, v11
	v_fmac_f32_e32 v8, 0xbf5db3d7, v3
	v_fmac_f32_e32 v4, 0x3f5db3d7, v3
	v_add_f32_e32 v3, v5, v23
	v_fma_f32 v5, -0.5, v9, v5
	v_fmac_f32_e32 v27, v48, v10
	v_sub_f32_e32 v10, v22, v24
	v_mov_b32_e32 v9, v5
	v_add_f32_e32 v11, v13, v26
	v_fmac_f32_e32 v9, 0x3f5db3d7, v10
	v_fmac_f32_e32 v5, 0xbf5db3d7, v10
	v_add_f32_e32 v10, v6, v13
	v_fma_f32 v6, -0.5, v11, v6
	v_add_f32_e32 v3, v3, v12
	v_sub_f32_e32 v11, v25, v14
	v_mov_b32_e32 v12, v6
	v_fmac_f32_e32 v12, 0xbf5db3d7, v11
	v_fmac_f32_e32 v6, 0x3f5db3d7, v11
	v_add_f32_e32 v11, v7, v25
	v_add_f32_e32 v11, v11, v14
	;; [unrolled: 1-line block ×3, first 2 shown]
	v_fmac_f32_e32 v7, -0.5, v14
	v_sub_f32_e32 v14, v13, v26
	v_mov_b32_e32 v13, v7
	v_add_f32_e32 v15, v27, v29
	v_mul_f32_e32 v21, v45, v19
	v_fmac_f32_e32 v13, 0x3f5db3d7, v14
	v_fmac_f32_e32 v7, 0xbf5db3d7, v14
	v_add_f32_e32 v14, v0, v27
	v_fma_f32 v0, -0.5, v15, v0
	v_fmac_f32_e32 v21, v44, v18
	v_mul_f32_e32 v31, v47, v65
	v_sub_f32_e32 v15, v28, v20
	v_mov_b32_e32 v22, v0
	v_add_f32_e32 v18, v28, v20
	v_fmac_f32_e32 v31, v46, v64
	v_fmac_f32_e32 v22, 0xbf5db3d7, v15
	v_fmac_f32_e32 v0, 0x3f5db3d7, v15
	v_add_f32_e32 v15, v1, v28
	v_fmac_f32_e32 v1, -0.5, v18
	v_sub_f32_e32 v18, v27, v29
	v_mov_b32_e32 v23, v1
	v_add_f32_e32 v19, v21, v31
	v_fmac_f32_e32 v23, 0x3f5db3d7, v18
	v_fmac_f32_e32 v1, 0xbf5db3d7, v18
	v_add_f32_e32 v18, v16, v21
	v_fmac_f32_e32 v16, -0.5, v19
	v_add_f32_e32 v2, v2, v24
	v_add_f32_e32 v15, v15, v20
	v_sub_f32_e32 v19, v30, v32
	v_mov_b32_e32 v20, v16
	v_add_f32_e32 v24, v30, v32
	v_fmac_f32_e32 v20, 0xbf5db3d7, v19
	v_fmac_f32_e32 v16, 0x3f5db3d7, v19
	v_add_f32_e32 v19, v17, v30
	v_fmac_f32_e32 v17, -0.5, v24
	v_sub_f32_e32 v24, v21, v31
	v_mov_b32_e32 v21, v17
	v_add_f32_e32 v18, v18, v31
	v_add_f32_e32 v19, v19, v32
	v_fmac_f32_e32 v21, 0x3f5db3d7, v24
	v_fmac_f32_e32 v17, 0xbf5db3d7, v24
	v_add_f32_e32 v10, v10, v26
	v_add_f32_e32 v14, v14, v29
	s_barrier
	ds_write2_b64 v113, v[2:3], v[8:9] offset1:90
	ds_write_b64 v113, v[4:5] offset:1440
	ds_write2_b64 v125, v[10:11], v[12:13] offset1:90
	ds_write_b64 v125, v[6:7] offset:1440
	;; [unrolled: 2-line block ×3, first 2 shown]
	s_and_saveexec_b64 s[2:3], s[0:1]
	s_cbranch_execz .LBB0_33
; %bb.32:
	v_add_u32_e32 v0, 0x1000, v124
	ds_write2_b64 v0, v[18:19], v[20:21] offset0:28 offset1:118
	ds_write_b64 v124, v[16:17] offset:5760
.LBB0_33:
	s_or_b64 exec, exec, s[2:3]
	v_add_u32_e32 v4, 0x400, v113
	v_add_u32_e32 v24, 0x1000, v113
	;; [unrolled: 1-line block ×3, first 2 shown]
	s_waitcnt lgkmcnt(0)
	s_barrier
	ds_read2_b64 v[0:3], v113 offset1:81
	ds_read2_b64 v[4:7], v4 offset0:34 offset1:142
	ds_read2_b64 v[12:15], v24 offset0:28 offset1:109
	;; [unrolled: 1-line block ×3, first 2 shown]
	ds_read_b64 v[22:23], v113 offset:5616
	s_and_saveexec_b64 s[2:3], s[0:1]
	s_cbranch_execz .LBB0_35
; %bb.34:
	ds_read_b64 v[18:19], v113 offset:1944
	ds_read_b64 v[20:21], v113 offset:4104
	;; [unrolled: 1-line block ×3, first 2 shown]
.LBB0_35:
	s_or_b64 exec, exec, s[2:3]
	s_waitcnt lgkmcnt(3)
	v_mul_f32_e32 v26, v53, v7
	v_fmac_f32_e32 v26, v52, v6
	v_mul_f32_e32 v6, v53, v6
	v_fma_f32 v27, v52, v7, -v6
	s_waitcnt lgkmcnt(2)
	v_mul_f32_e32 v28, v55, v13
	v_mul_f32_e32 v6, v55, v12
	v_fmac_f32_e32 v28, v54, v12
	v_fma_f32 v12, v54, v13, -v6
	s_waitcnt lgkmcnt(1)
	v_mul_f32_e32 v6, v57, v8
	v_fma_f32 v29, v56, v9, -v6
	v_mul_f32_e32 v30, v59, v15
	v_mul_f32_e32 v6, v59, v14
	v_fmac_f32_e32 v30, v58, v14
	v_fma_f32 v14, v58, v15, -v6
	v_mul_f32_e32 v6, v61, v10
	v_fma_f32 v32, v60, v11, -v6
	s_waitcnt lgkmcnt(0)
	v_mul_f32_e32 v6, v63, v22
	v_add_f32_e32 v7, v26, v28
	v_mul_f32_e32 v13, v57, v9
	v_mul_f32_e32 v33, v63, v23
	v_fma_f32 v23, v62, v23, -v6
	v_add_f32_e32 v6, v0, v26
	v_fma_f32 v0, -0.5, v7, v0
	v_fmac_f32_e32 v13, v56, v8
	v_sub_f32_e32 v7, v27, v12
	v_mov_b32_e32 v8, v0
	v_add_f32_e32 v9, v27, v12
	v_mul_f32_e32 v31, v61, v11
	v_fmac_f32_e32 v8, 0xbf5db3d7, v7
	v_fmac_f32_e32 v0, 0x3f5db3d7, v7
	v_add_f32_e32 v7, v1, v27
	v_fma_f32 v1, -0.5, v9, v1
	v_fmac_f32_e32 v31, v60, v10
	v_sub_f32_e32 v10, v26, v28
	v_mov_b32_e32 v9, v1
	v_add_f32_e32 v11, v13, v30
	v_fmac_f32_e32 v9, 0x3f5db3d7, v10
	v_fmac_f32_e32 v1, 0xbf5db3d7, v10
	v_add_f32_e32 v10, v2, v13
	v_fma_f32 v2, -0.5, v11, v2
	v_add_f32_e32 v7, v7, v12
	v_sub_f32_e32 v11, v29, v14
	v_mov_b32_e32 v12, v2
	v_fmac_f32_e32 v12, 0xbf5db3d7, v11
	v_fmac_f32_e32 v2, 0x3f5db3d7, v11
	v_add_f32_e32 v11, v3, v29
	v_add_f32_e32 v11, v11, v14
	;; [unrolled: 1-line block ×3, first 2 shown]
	v_fmac_f32_e32 v33, v62, v22
	v_fmac_f32_e32 v3, -0.5, v14
	v_sub_f32_e32 v14, v13, v30
	v_mov_b32_e32 v13, v3
	v_add_f32_e32 v15, v31, v33
	v_fmac_f32_e32 v13, 0x3f5db3d7, v14
	v_fmac_f32_e32 v3, 0xbf5db3d7, v14
	v_add_f32_e32 v14, v4, v31
	v_fma_f32 v4, -0.5, v15, v4
	v_sub_f32_e32 v15, v32, v23
	v_mov_b32_e32 v22, v4
	v_fmac_f32_e32 v22, 0xbf5db3d7, v15
	v_fmac_f32_e32 v4, 0x3f5db3d7, v15
	v_add_f32_e32 v15, v5, v32
	v_add_f32_e32 v15, v15, v23
	;; [unrolled: 1-line block ×3, first 2 shown]
	v_fmac_f32_e32 v5, -0.5, v23
	v_sub_f32_e32 v26, v31, v33
	v_mov_b32_e32 v23, v5
	v_add_f32_e32 v6, v6, v28
	v_add_f32_e32 v10, v10, v30
	;; [unrolled: 1-line block ×3, first 2 shown]
	v_fmac_f32_e32 v23, 0x3f5db3d7, v26
	v_fmac_f32_e32 v5, 0xbf5db3d7, v26
	ds_write_b64 v113, v[8:9] offset:2160
	ds_write_b64 v113, v[0:1] offset:4320
	ds_write2_b64 v113, v[6:7], v[10:11] offset1:81
	ds_write_b64 v113, v[14:15] offset:1296
	ds_write2_b64 v25, v[12:13], v[22:23] offset0:95 offset1:176
	ds_write2_b64 v24, v[2:3], v[4:5] offset0:109 offset1:190
	s_and_saveexec_b64 s[2:3], s[0:1]
	s_cbranch_execz .LBB0_37
; %bb.36:
	v_mul_f32_e32 v0, v41, v20
	v_fma_f32 v2, v40, v21, -v0
	v_mul_f32_e32 v0, v43, v16
	v_fma_f32 v4, v42, v17, -v0
	v_add_f32_e32 v0, v2, v4
	v_mul_f32_e32 v6, v41, v21
	v_mul_f32_e32 v7, v43, v17
	v_fma_f32 v1, -0.5, v0, v19
	v_fmac_f32_e32 v6, v40, v20
	v_fmac_f32_e32 v7, v42, v16
	v_sub_f32_e32 v0, v6, v7
	v_mov_b32_e32 v3, v1
	v_fmac_f32_e32 v3, 0xbf5db3d7, v0
	v_fmac_f32_e32 v1, 0x3f5db3d7, v0
	v_add_f32_e32 v0, v19, v2
	v_add_f32_e32 v5, v0, v4
	v_add_f32_e32 v0, v6, v7
	v_fma_f32 v0, -0.5, v0, v18
	v_sub_f32_e32 v4, v2, v4
	v_mov_b32_e32 v2, v0
	v_fmac_f32_e32 v2, 0x3f5db3d7, v4
	v_fmac_f32_e32 v0, 0xbf5db3d7, v4
	v_add_f32_e32 v4, v18, v6
	v_add_f32_e32 v4, v4, v7
	ds_write_b64 v113, v[4:5] offset:1944
	ds_write_b64 v113, v[0:1] offset:4104
	;; [unrolled: 1-line block ×3, first 2 shown]
.LBB0_37:
	s_or_b64 exec, exec, s[2:3]
	s_waitcnt lgkmcnt(0)
	s_barrier
	ds_read2_b64 v[0:3], v113 offset1:81
	v_mad_u64_u32 v[8:9], s[2:3], s10, v86, 0
	s_mov_b32 s2, 0x30abee4d
	s_mov_b32 s3, 0x3f543a27
	s_waitcnt lgkmcnt(0)
	v_mul_f32_e32 v4, v100, v1
	v_fmac_f32_e32 v4, v99, v0
	v_cvt_f64_f32_e32 v[4:5], v4
	v_mul_f32_e32 v0, v100, v0
	v_fma_f32 v0, v99, v1, -v0
	v_cvt_f64_f32_e32 v[0:1], v0
	v_mul_f64 v[4:5], v[4:5], s[2:3]
	v_mad_u64_u32 v[10:11], s[4:5], s8, v114, 0
	v_mov_b32_e32 v6, v9
	v_mad_u64_u32 v[6:7], s[4:5], s11, v86, v[6:7]
	v_mul_f64 v[0:1], v[0:1], s[2:3]
	s_movk_i32 s10, 0x1000
	v_cvt_f32_f64_e32 v12, v[4:5]
	v_mov_b32_e32 v4, v11
	v_mad_u64_u32 v[14:15], s[4:5], s9, v114, v[4:5]
	v_add_u32_e32 v4, 0x400, v113
	v_mov_b32_e32 v9, v6
	ds_read2_b64 v[4:7], v4 offset0:34 offset1:142
	v_cvt_f32_f64_e32 v13, v[0:1]
	v_lshlrev_b64 v[0:1], 3, v[8:9]
	v_mov_b32_e32 v11, v14
	v_mov_b32_e32 v14, s7
	s_waitcnt lgkmcnt(0)
	v_mul_f32_e32 v8, v96, v7
	v_fmac_f32_e32 v8, v95, v6
	v_mul_f32_e32 v6, v96, v6
	v_fma_f32 v6, v95, v7, -v6
	v_cvt_f64_f32_e32 v[8:9], v8
	v_cvt_f64_f32_e32 v[6:7], v6
	v_add_co_u32_e32 v15, vcc, s6, v0
	v_addc_co_u32_e32 v14, vcc, v14, v1, vcc
	v_mul_f64 v[0:1], v[8:9], s[2:3]
	v_mul_f64 v[6:7], v[6:7], s[2:3]
	v_lshlrev_b64 v[8:9], 3, v[10:11]
	s_mul_i32 s4, s9, 0x10e
	v_add_co_u32_e32 v10, vcc, v15, v8
	v_addc_co_u32_e32 v11, vcc, v14, v9, vcc
	v_cvt_f32_f64_e32 v0, v[0:1]
	v_cvt_f32_f64_e32 v1, v[6:7]
	v_add_u32_e32 v6, 0x1000, v113
	ds_read2_b64 v[6:9], v6 offset0:28 offset1:109
	global_store_dwordx2 v[10:11], v[12:13], off
	s_mul_hi_u32 s5, s8, 0x10e
	s_add_i32 s5, s5, s4
	s_mul_i32 s4, s8, 0x10e
	s_waitcnt lgkmcnt(0)
	v_mul_f32_e32 v12, v98, v7
	v_fmac_f32_e32 v12, v97, v6
	v_cvt_f64_f32_e32 v[12:13], v12
	v_mul_f32_e32 v6, v98, v6
	s_lshl_b64 s[4:5], s[4:5], 3
	v_fma_f32 v6, v97, v7, -v6
	v_mov_b32_e32 v14, s5
	v_cvt_f64_f32_e32 v[6:7], v6
	v_add_co_u32_e32 v10, vcc, s4, v10
	v_addc_co_u32_e32 v11, vcc, v11, v14, vcc
	global_store_dwordx2 v[10:11], v[0:1], off
	v_mul_f64 v[0:1], v[12:13], s[2:3]
	v_mul_f32_e32 v12, v94, v3
	v_fmac_f32_e32 v12, v93, v2
	v_mul_f32_e32 v2, v94, v2
	v_mul_f64 v[6:7], v[6:7], s[2:3]
	v_fma_f32 v2, v93, v3, -v2
	v_cvt_f64_f32_e32 v[2:3], v2
	v_cvt_f64_f32_e32 v[12:13], v12
	v_cvt_f32_f64_e32 v0, v[0:1]
	s_mul_hi_u32 s7, s8, 0xfffffe35
	v_mul_f64 v[2:3], v[2:3], s[2:3]
	v_mul_f64 v[12:13], v[12:13], s[2:3]
	v_cvt_f32_f64_e32 v1, v[6:7]
	v_add_co_u32_e32 v6, vcc, s4, v10
	v_addc_co_u32_e32 v7, vcc, v11, v14, vcc
	global_store_dwordx2 v[6:7], v[0:1], off
	v_add_u32_e32 v0, 0x800, v113
	v_cvt_f32_f64_e32 v11, v[2:3]
	ds_read2_b64 v[0:3], v0 offset0:95 offset1:176
	v_cvt_f32_f64_e32 v10, v[12:13]
	s_mul_i32 s6, s9, 0xfffffe35
	s_sub_i32 s7, s7, s8
	s_add_i32 s7, s7, s6
	s_waitcnt lgkmcnt(0)
	v_mul_f32_e32 v12, v92, v1
	v_fmac_f32_e32 v12, v91, v0
	v_mul_f32_e32 v0, v92, v0
	v_fma_f32 v0, v91, v1, -v0
	v_cvt_f64_f32_e32 v[0:1], v0
	v_cvt_f64_f32_e32 v[12:13], v12
	s_mul_i32 s6, s8, 0xfffffe35
	s_lshl_b64 s[6:7], s[6:7], 3
	v_mul_f64 v[0:1], v[0:1], s[2:3]
	v_mul_f64 v[12:13], v[12:13], s[2:3]
	v_mov_b32_e32 v15, s7
	v_add_co_u32_e32 v6, vcc, s6, v6
	v_addc_co_u32_e32 v7, vcc, v7, v15, vcc
	global_store_dwordx2 v[6:7], v[10:11], off
	v_cvt_f32_f64_e32 v11, v[0:1]
	v_mul_f32_e32 v0, v90, v9
	v_fmac_f32_e32 v0, v89, v8
	v_mul_f32_e32 v8, v90, v8
	v_fma_f32 v8, v89, v9, -v8
	v_cvt_f64_f32_e32 v[0:1], v0
	v_cvt_f64_f32_e32 v[8:9], v8
	v_cvt_f32_f64_e32 v10, v[12:13]
	v_mul_f32_e32 v12, v85, v5
	v_fmac_f32_e32 v12, v84, v4
	v_mul_f32_e32 v4, v85, v4
	v_fma_f32 v4, v84, v5, -v4
	v_mul_f64 v[0:1], v[0:1], s[2:3]
	v_mul_f64 v[8:9], v[8:9], s[2:3]
	v_cvt_f64_f32_e32 v[4:5], v4
	v_cvt_f64_f32_e32 v[12:13], v12
	v_add_co_u32_e32 v6, vcc, s4, v6
	v_mul_f64 v[4:5], v[4:5], s[2:3]
	v_addc_co_u32_e32 v7, vcc, v7, v14, vcc
	v_cvt_f32_f64_e32 v0, v[0:1]
	v_cvt_f32_f64_e32 v1, v[8:9]
	global_store_dwordx2 v[6:7], v[10:11], off
	v_add_co_u32_e32 v6, vcc, s4, v6
	v_mul_f64 v[10:11], v[12:13], s[2:3]
	v_addc_co_u32_e32 v7, vcc, v7, v14, vcc
	global_store_dwordx2 v[6:7], v[0:1], off
	v_cvt_f32_f64_e32 v1, v[4:5]
	v_mul_f32_e32 v4, v83, v3
	v_fmac_f32_e32 v4, v82, v2
	v_cvt_f64_f32_e32 v[4:5], v4
	ds_read_b64 v[8:9], v113 offset:5616
	v_mul_f32_e32 v2, v83, v2
	v_cvt_f32_f64_e32 v0, v[10:11]
	v_mul_f64 v[4:5], v[4:5], s[2:3]
	v_fma_f32 v2, v82, v3, -v2
	s_waitcnt lgkmcnt(0)
	v_mul_f32_e32 v10, v88, v9
	v_cvt_f64_f32_e32 v[2:3], v2
	v_fmac_f32_e32 v10, v87, v8
	v_mul_f32_e32 v8, v88, v8
	v_fma_f32 v8, v87, v9, -v8
	v_cvt_f64_f32_e32 v[10:11], v10
	v_cvt_f64_f32_e32 v[8:9], v8
	v_add_co_u32_e32 v6, vcc, s6, v6
	v_mul_f64 v[2:3], v[2:3], s[2:3]
	v_addc_co_u32_e32 v7, vcc, v7, v15, vcc
	global_store_dwordx2 v[6:7], v[0:1], off
	v_cvt_f32_f64_e32 v0, v[4:5]
	v_mul_f64 v[4:5], v[10:11], s[2:3]
	v_mul_f64 v[8:9], v[8:9], s[2:3]
	v_cvt_f32_f64_e32 v1, v[2:3]
	v_add_co_u32_e32 v2, vcc, s4, v6
	v_addc_co_u32_e32 v3, vcc, v7, v14, vcc
	v_cvt_f32_f64_e32 v4, v[4:5]
	v_cvt_f32_f64_e32 v5, v[8:9]
	global_store_dwordx2 v[2:3], v[0:1], off
	v_add_co_u32_e32 v0, vcc, s4, v2
	v_addc_co_u32_e32 v1, vcc, v3, v14, vcc
	global_store_dwordx2 v[0:1], v[4:5], off
	s_and_b64 exec, exec, s[0:1]
	s_cbranch_execz .LBB0_39
; %bb.38:
	global_load_dwordx2 v[2:3], v[80:81], off offset:1944
	v_add_co_u32_e32 v4, vcc, s10, v80
	v_addc_co_u32_e32 v5, vcc, 0, v81, vcc
	global_load_dwordx2 v[6:7], v[4:5], off offset:8
	global_load_dwordx2 v[8:9], v[4:5], off offset:2168
	ds_read_b64 v[4:5], v113 offset:1944
	ds_read_b64 v[10:11], v113 offset:4104
	;; [unrolled: 1-line block ×3, first 2 shown]
	v_mov_b32_e32 v14, s7
	v_add_co_u32_e32 v0, vcc, s6, v0
	v_addc_co_u32_e32 v1, vcc, v1, v14, vcc
	v_mov_b32_e32 v16, s5
	s_waitcnt vmcnt(2) lgkmcnt(2)
	v_mul_f32_e32 v14, v5, v3
	v_mul_f32_e32 v3, v4, v3
	v_fmac_f32_e32 v14, v4, v2
	v_fma_f32 v4, v2, v5, -v3
	s_waitcnt vmcnt(1) lgkmcnt(1)
	v_mul_f32_e32 v15, v11, v7
	v_mul_f32_e32 v7, v10, v7
	s_waitcnt vmcnt(0) lgkmcnt(0)
	v_mul_f32_e32 v17, v13, v9
	v_mul_f32_e32 v9, v12, v9
	v_cvt_f64_f32_e32 v[2:3], v14
	v_cvt_f64_f32_e32 v[4:5], v4
	v_fmac_f32_e32 v15, v10, v6
	v_fma_f32 v10, v6, v11, -v7
	v_fmac_f32_e32 v17, v12, v8
	v_fma_f32 v12, v8, v13, -v9
	v_cvt_f64_f32_e32 v[6:7], v15
	v_cvt_f64_f32_e32 v[8:9], v10
	;; [unrolled: 1-line block ×4, first 2 shown]
	v_mul_f64 v[2:3], v[2:3], s[2:3]
	v_mul_f64 v[4:5], v[4:5], s[2:3]
	;; [unrolled: 1-line block ×6, first 2 shown]
	v_add_co_u32_e32 v14, vcc, s4, v0
	v_cvt_f32_f64_e32 v2, v[2:3]
	v_cvt_f32_f64_e32 v3, v[4:5]
	v_cvt_f32_f64_e32 v4, v[6:7]
	v_cvt_f32_f64_e32 v5, v[8:9]
	v_addc_co_u32_e32 v15, vcc, v1, v16, vcc
	v_cvt_f32_f64_e32 v6, v[10:11]
	v_cvt_f32_f64_e32 v7, v[12:13]
	v_add_co_u32_e32 v8, vcc, s4, v14
	v_addc_co_u32_e32 v9, vcc, v15, v16, vcc
	global_store_dwordx2 v[0:1], v[2:3], off
	global_store_dwordx2 v[14:15], v[4:5], off
	;; [unrolled: 1-line block ×3, first 2 shown]
.LBB0_39:
	s_endpgm
	.section	.rodata,"a",@progbits
	.p2align	6, 0x0
	.amdhsa_kernel bluestein_single_back_len810_dim1_sp_op_CI_CI
		.amdhsa_group_segment_fixed_size 6480
		.amdhsa_private_segment_fixed_size 0
		.amdhsa_kernarg_size 104
		.amdhsa_user_sgpr_count 6
		.amdhsa_user_sgpr_private_segment_buffer 1
		.amdhsa_user_sgpr_dispatch_ptr 0
		.amdhsa_user_sgpr_queue_ptr 0
		.amdhsa_user_sgpr_kernarg_segment_ptr 1
		.amdhsa_user_sgpr_dispatch_id 0
		.amdhsa_user_sgpr_flat_scratch_init 0
		.amdhsa_user_sgpr_private_segment_size 0
		.amdhsa_uses_dynamic_stack 0
		.amdhsa_system_sgpr_private_segment_wavefront_offset 0
		.amdhsa_system_sgpr_workgroup_id_x 1
		.amdhsa_system_sgpr_workgroup_id_y 0
		.amdhsa_system_sgpr_workgroup_id_z 0
		.amdhsa_system_sgpr_workgroup_info 0
		.amdhsa_system_vgpr_workitem_id 0
		.amdhsa_next_free_vgpr 148
		.amdhsa_next_free_sgpr 20
		.amdhsa_reserve_vcc 1
		.amdhsa_reserve_flat_scratch 0
		.amdhsa_float_round_mode_32 0
		.amdhsa_float_round_mode_16_64 0
		.amdhsa_float_denorm_mode_32 3
		.amdhsa_float_denorm_mode_16_64 3
		.amdhsa_dx10_clamp 1
		.amdhsa_ieee_mode 1
		.amdhsa_fp16_overflow 0
		.amdhsa_exception_fp_ieee_invalid_op 0
		.amdhsa_exception_fp_denorm_src 0
		.amdhsa_exception_fp_ieee_div_zero 0
		.amdhsa_exception_fp_ieee_overflow 0
		.amdhsa_exception_fp_ieee_underflow 0
		.amdhsa_exception_fp_ieee_inexact 0
		.amdhsa_exception_int_div_zero 0
	.end_amdhsa_kernel
	.text
.Lfunc_end0:
	.size	bluestein_single_back_len810_dim1_sp_op_CI_CI, .Lfunc_end0-bluestein_single_back_len810_dim1_sp_op_CI_CI
                                        ; -- End function
	.section	.AMDGPU.csdata,"",@progbits
; Kernel info:
; codeLenInByte = 11168
; NumSgprs: 24
; NumVgprs: 148
; ScratchSize: 0
; MemoryBound: 0
; FloatMode: 240
; IeeeMode: 1
; LDSByteSize: 6480 bytes/workgroup (compile time only)
; SGPRBlocks: 2
; VGPRBlocks: 36
; NumSGPRsForWavesPerEU: 24
; NumVGPRsForWavesPerEU: 148
; Occupancy: 1
; WaveLimiterHint : 1
; COMPUTE_PGM_RSRC2:SCRATCH_EN: 0
; COMPUTE_PGM_RSRC2:USER_SGPR: 6
; COMPUTE_PGM_RSRC2:TRAP_HANDLER: 0
; COMPUTE_PGM_RSRC2:TGID_X_EN: 1
; COMPUTE_PGM_RSRC2:TGID_Y_EN: 0
; COMPUTE_PGM_RSRC2:TGID_Z_EN: 0
; COMPUTE_PGM_RSRC2:TIDIG_COMP_CNT: 0
	.type	__hip_cuid_eac09b50888d7109,@object ; @__hip_cuid_eac09b50888d7109
	.section	.bss,"aw",@nobits
	.globl	__hip_cuid_eac09b50888d7109
__hip_cuid_eac09b50888d7109:
	.byte	0                               ; 0x0
	.size	__hip_cuid_eac09b50888d7109, 1

	.ident	"AMD clang version 19.0.0git (https://github.com/RadeonOpenCompute/llvm-project roc-6.4.0 25133 c7fe45cf4b819c5991fe208aaa96edf142730f1d)"
	.section	".note.GNU-stack","",@progbits
	.addrsig
	.addrsig_sym __hip_cuid_eac09b50888d7109
	.amdgpu_metadata
---
amdhsa.kernels:
  - .args:
      - .actual_access:  read_only
        .address_space:  global
        .offset:         0
        .size:           8
        .value_kind:     global_buffer
      - .actual_access:  read_only
        .address_space:  global
        .offset:         8
        .size:           8
        .value_kind:     global_buffer
      - .actual_access:  read_only
        .address_space:  global
        .offset:         16
        .size:           8
        .value_kind:     global_buffer
      - .actual_access:  read_only
        .address_space:  global
        .offset:         24
        .size:           8
        .value_kind:     global_buffer
      - .actual_access:  read_only
        .address_space:  global
        .offset:         32
        .size:           8
        .value_kind:     global_buffer
      - .offset:         40
        .size:           8
        .value_kind:     by_value
      - .address_space:  global
        .offset:         48
        .size:           8
        .value_kind:     global_buffer
      - .address_space:  global
        .offset:         56
        .size:           8
        .value_kind:     global_buffer
      - .address_space:  global
        .offset:         64
        .size:           8
        .value_kind:     global_buffer
      - .address_space:  global
        .offset:         72
        .size:           8
        .value_kind:     global_buffer
      - .offset:         80
        .size:           4
        .value_kind:     by_value
      - .address_space:  global
        .offset:         88
        .size:           8
        .value_kind:     global_buffer
      - .address_space:  global
        .offset:         96
        .size:           8
        .value_kind:     global_buffer
    .group_segment_fixed_size: 6480
    .kernarg_segment_align: 8
    .kernarg_segment_size: 104
    .language:       OpenCL C
    .language_version:
      - 2
      - 0
    .max_flat_workgroup_size: 81
    .name:           bluestein_single_back_len810_dim1_sp_op_CI_CI
    .private_segment_fixed_size: 0
    .sgpr_count:     24
    .sgpr_spill_count: 0
    .symbol:         bluestein_single_back_len810_dim1_sp_op_CI_CI.kd
    .uniform_work_group_size: 1
    .uses_dynamic_stack: false
    .vgpr_count:     148
    .vgpr_spill_count: 0
    .wavefront_size: 64
amdhsa.target:   amdgcn-amd-amdhsa--gfx906
amdhsa.version:
  - 1
  - 2
...

	.end_amdgpu_metadata
